;; amdgpu-corpus repo=triton-lang/triton kind=triton arch=gfx1201 opt=O3 lang=triton
	.amdgcn_target "amdgcn-amd-amdhsa--gfx1201"
	.amdhsa_code_object_version 5
	.text
	.globl	_attn_bwd_preprocess            ; -- Begin function _attn_bwd_preprocess
	.p2align	8
	.type	_attn_bwd_preprocess,@function
_attn_bwd_preprocess:                   ; @_attn_bwd_preprocess
.Lfunc_begin0:
	.file	1 "/root/src/amdgpu-assembly/repos/triton-lang__triton-aot" "attention_bwd.py"
	.loc	1 8 0                           ; attention_bwd.py:8:0
	.cfi_sections .debug_frame
	.cfi_startproc
; %bb.0:
	s_clause 0x1
	s_load_b32 s2, s[0:1], 0x20
	s_load_b128 s[4:7], s[0:1], 0x0
.Ltmp0:
	.loc	1 13 54 prologue_end            ; attention_bwd.py:13:54
	v_and_b32_e32 v2, 31, v0
	.loc	1 21 45                         ; attention_bwd.py:21:45
	s_bfe_u32 s3, ttmp8, 0x50019
	s_and_b32 s9, ttmp7, 0xffff
	.loc	1 17 65                         ; attention_bwd.py:17:65
	s_lshl_b32 s8, ttmp9, 13
.Ltmp1:
	.file	2 "/root/.local/lib/python3.13/site-packages/triton/language" "standard.py"
	.loc	2 293 36                        ; standard.py:293:36 @[ attention_bwd.py:19:19 ]
	s_mov_b32 s64, exec_lo
.Ltmp2:
	.loc	1 13 54                         ; attention_bwd.py:13:54
	v_lshl_or_b32 v1, s3, 5, v2
	s_delay_alu instid0(VALU_DEP_1) | instskip(NEXT) | instid1(VALU_DEP_1)
	.loc	1 17 82                         ; attention_bwd.py:17:82
	v_and_b32_e32 v3, 0x7f, v1
	.loc	1 17 76 is_stmt 0               ; attention_bwd.py:17:76
	v_lshlrev_b32_e32 v3, 1, v3
	.loc	1 17 40                         ; attention_bwd.py:17:40
	s_wait_kmcnt 0x0
	s_mul_i32 s2, s9, s2
	.loc	1 17 48                         ; attention_bwd.py:17:48
	s_ashr_i32 s9, s8, 31
	.loc	1 17 40                         ; attention_bwd.py:17:40
	s_wait_alu depctr_sa_sdst(0)
	s_lshl_b32 s10, s2, 7
	.loc	1 17 48                         ; attention_bwd.py:17:48
	s_lshl_b64 s[8:9], s[8:9], 1
	.loc	1 17 20                         ; attention_bwd.py:17:20
	s_ashr_i32 s11, s10, 31
	s_delay_alu instid0(SALU_CYCLE_1) | instskip(NEXT) | instid1(SALU_CYCLE_1)
	s_lshl_b64 s[10:11], s[10:11], 1
	.loc	1 18 22 is_stmt 1               ; attention_bwd.py:18:22
	s_add_nc_u64 s[6:7], s[6:7], s[10:11]
	.loc	1 17 20                         ; attention_bwd.py:17:20
	s_add_nc_u64 s[4:5], s[4:5], s[10:11]
	.loc	1 18 50                         ; attention_bwd.py:18:50
	;; [unrolled: 2-line block ×4, first 2 shown]
	s_clause 0x1f
	global_load_u16 v31, v3, s[6:7]
	global_load_u16 v32, v3, s[6:7] offset:256
	global_load_u16 v33, v3, s[4:5]
	global_load_u16 v34, v3, s[6:7] offset:512
	global_load_u16 v35, v3, s[6:7] offset:768
	;; [unrolled: 1-line block ×29, first 2 shown]
	.loc	1 19 23                         ; attention_bwd.py:19:23
	s_clause 0x1f
	global_load_u16 v63, v3, s[4:5] offset:3840
	global_load_u16 v64, v3, s[4:5] offset:4096
	;; [unrolled: 1-line block ×32, first 2 shown]
	.loc	1 18 97                         ; attention_bwd.py:18:97
	s_clause 0x14
	global_load_u16 v10, v3, s[6:7] offset:8960
	global_load_u16 v11, v3, s[6:7] offset:9216
	;; [unrolled: 1-line block ×21, first 2 shown]
	s_wait_loadcnt 0x3d
	v_lshlrev_b32_e32 v54, 16, v54
	v_lshlrev_b32_e32 v49, 16, v49
	;; [unrolled: 1-line block ×3, first 2 shown]
	.loc	1 19 23                         ; attention_bwd.py:19:23
	v_lshlrev_b32_e32 v44, 16, v44
	.loc	1 18 97                         ; attention_bwd.py:18:97
	v_lshlrev_b32_e32 v46, 16, v46
	;; [unrolled: 2-line block ×4, first 2 shown]
	v_lshlrev_b32_e32 v50, 16, v50
	v_lshlrev_b32_e32 v48, 16, v48
	;; [unrolled: 1-line block ×3, first 2 shown]
	.loc	1 19 23                         ; attention_bwd.py:19:23
	v_lshlrev_b32_e32 v52, 16, v52
	.loc	1 18 97                         ; attention_bwd.py:18:97
	v_lshlrev_b32_e32 v35, 16, v35
	;; [unrolled: 2-line block ×3, first 2 shown]
	v_lshlrev_b32_e32 v42, 16, v42
	.loc	1 18 97                         ; attention_bwd.py:18:97
	v_lshlrev_b32_e32 v31, 16, v31
	v_lshlrev_b32_e32 v34, 16, v34
	;; [unrolled: 1-line block ×3, first 2 shown]
	.loc	1 19 23                         ; attention_bwd.py:19:23
	v_lshlrev_b32_e32 v40, 16, v40
	v_lshlrev_b32_e32 v36, 16, v36
	s_wait_loadcnt 0x33
	v_dual_mul_f32 v91, v39, v34 :: v_dual_lshlrev_b32 v64, 16, v64
	.loc	1 18 97                         ; attention_bwd.py:18:97
	s_wait_loadcnt 0x28
	v_lshlrev_b32_e32 v75, 16, v75
	.loc	1 19 23                         ; attention_bwd.py:19:23
	s_wait_loadcnt 0x27
	v_lshlrev_b32_e32 v76, 16, v76
	s_wait_loadcnt 0x24
	v_dual_mul_f32 v90, v36, v32 :: v_dual_lshlrev_b32 v79, 16, v79
	v_lshlrev_b32_e32 v61, 16, v61
	v_lshlrev_b32_e32 v62, 16, v62
	s_delay_alu instid0(VALU_DEP_3) | instskip(SKIP_1) | instid1(VALU_DEP_1)
.Ltmp3:
	.loc	2 293 36                        ; standard.py:293:36 @[ attention_bwd.py:19:19 ]
	v_mov_b32_dpp v90, v90 row_shr:8 row_mask:0xf bank_mask:0xf bound_ctrl:1
.Ltmp4:
	.loc	2 263 15                        ; standard.py:263:15 @[ standard.py:293:36 @[ attention_bwd.py:19:19 ] ]
	s_wait_loadcnt 0x1e
	v_dual_fmac_f32 v90, v36, v32 :: v_dual_lshlrev_b32 v85, 16, v85
.Ltmp5:
	.loc	1 18 97                         ; attention_bwd.py:18:97
	v_lshlrev_b32_e32 v36, 16, v43
.Ltmp6:
	.loc	2 293 36                        ; standard.py:293:36 @[ attention_bwd.py:19:19 ]
	v_mov_b32_dpp v43, v91 row_shr:8 row_mask:0xf bank_mask:0xf bound_ctrl:1
.Ltmp7:
	.loc	1 19 23                         ; attention_bwd.py:19:23
	s_wait_loadcnt 0x1a
	v_dual_mul_f32 v32, v42, v38 :: v_dual_lshlrev_b32 v93, 16, v4
	.loc	1 18 97                         ; attention_bwd.py:18:97
	s_wait_loadcnt 0x18
	v_lshlrev_b32_e32 v95, 16, v6
	.loc	1 19 23                         ; attention_bwd.py:19:23
	v_mul_f32_e32 v91, v44, v36
	.loc	1 18 97                         ; attention_bwd.py:18:97
	s_wait_loadcnt 0x16
	v_lshlrev_b32_e32 v97, 16, v8
.Ltmp8:
	.loc	2 293 36                        ; standard.py:293:36 @[ attention_bwd.py:19:19 ]
	v_mov_b32_dpp v32, v32 row_shr:8 row_mask:0xf bank_mask:0xf bound_ctrl:1
.Ltmp9:
	.loc	1 19 23                         ; attention_bwd.py:19:23
	v_lshlrev_b32_e32 v33, 16, v33
	.loc	1 18 97                         ; attention_bwd.py:18:97
	s_wait_loadcnt 0x14
	v_lshlrev_b32_e32 v99, 16, v10
.Ltmp10:
	.loc	2 293 36                        ; standard.py:293:36 @[ attention_bwd.py:19:19 ]
	v_mov_b32_dpp v91, v91 row_shr:8 row_mask:0xf bank_mask:0xf bound_ctrl:1
.Ltmp11:
	.loc	2 263 15                        ; standard.py:263:15 @[ standard.py:293:36 @[ attention_bwd.py:19:19 ] ]
	s_wait_loadcnt 0x12
	v_dual_fmac_f32 v32, v42, v38 :: v_dual_lshlrev_b32 v101, 16, v12
.Ltmp12:
	.loc	1 19 23                         ; attention_bwd.py:19:23
	v_mul_f32_e32 v89, v33, v31
	.loc	1 18 97                         ; attention_bwd.py:18:97
	s_wait_loadcnt 0x10
	v_lshlrev_b32_e32 v103, 16, v14
.Ltmp13:
	.loc	2 263 15                        ; standard.py:263:15 @[ standard.py:293:36 @[ attention_bwd.py:19:19 ] ]
	v_fmac_f32_e32 v91, v44, v36
.Ltmp14:
	.loc	1 19 23                         ; attention_bwd.py:19:23
	v_mul_f32_e32 v36, v52, v45
	v_lshlrev_b32_e32 v44, 16, v56
	.loc	1 18 97                         ; attention_bwd.py:18:97
	v_lshlrev_b32_e32 v37, 16, v37
	.loc	1 19 23                         ; attention_bwd.py:19:23
	v_lshlrev_b32_e32 v56, 16, v57
	v_lshlrev_b32_e32 v57, 16, v58
	;; [unrolled: 1-line block ×3, first 2 shown]
.Ltmp15:
	.loc	2 293 36                        ; standard.py:293:36 @[ attention_bwd.py:19:19 ]
	v_mov_b32_dpp v36, v36 row_shr:8 row_mask:0xf bank_mask:0xf bound_ctrl:1
.Ltmp16:
	.loc	1 19 23                         ; attention_bwd.py:19:23
	v_dual_mul_f32 v60, v44, v46 :: v_dual_lshlrev_b32 v59, 16, v60
.Ltmp17:
	.loc	2 293 36                        ; standard.py:293:36 @[ attention_bwd.py:19:19 ]
	v_mov_b32_dpp v89, v89 row_shr:8 row_mask:0xf bank_mask:0xf bound_ctrl:1
.Ltmp18:
	.loc	2 263 15                        ; standard.py:263:15 @[ standard.py:293:36 @[ attention_bwd.py:19:19 ] ]
	v_add_f32_dpp v32, v32, v32 row_shr:4 row_mask:0xf bank_mask:0xf bound_ctrl:1
	s_wait_loadcnt 0xe
	v_dual_fmac_f32 v36, v52, v45 :: v_dual_lshlrev_b32 v105, 16, v16
.Ltmp19:
	.loc	2 293 36                        ; standard.py:293:36 @[ attention_bwd.py:19:19 ]
	v_mov_b32_dpp v52, v60 row_shr:8 row_mask:0xf bank_mask:0xf bound_ctrl:1
.Ltmp20:
	.loc	1 19 23                         ; attention_bwd.py:19:23
	v_dual_mul_f32 v63, v57, v48 :: v_dual_lshlrev_b32 v60, 16, v63
.Ltmp21:
	.loc	2 263 15                        ; standard.py:263:15 @[ standard.py:293:36 @[ attention_bwd.py:19:19 ] ]
	v_fmac_f32_e32 v89, v33, v31
	v_fmac_f32_e32 v43, v39, v34
	s_delay_alu instid0(VALU_DEP_4) | instskip(NEXT) | instid1(VALU_DEP_4)
	v_dual_fmac_f32 v52, v44, v46 :: v_dual_mul_f32 v33, v41, v37
.Ltmp22:
	.loc	2 293 36                        ; standard.py:293:36 @[ attention_bwd.py:19:19 ]
	v_mov_b32_dpp v46, v63 row_shr:8 row_mask:0xf bank_mask:0xf bound_ctrl:1
.Ltmp23:
	.loc	1 19 23                         ; attention_bwd.py:19:23
	v_mul_f32_e32 v63, v59, v50
	v_mul_f32_e32 v31, v40, v35
.Ltmp24:
	.loc	2 263 15                        ; standard.py:263:15 @[ standard.py:293:36 @[ attention_bwd.py:19:19 ] ]
	v_add_f32_dpp v43, v43, v43 row_shr:4 row_mask:0xf bank_mask:0xf bound_ctrl:1
.Ltmp25:
	.loc	2 293 36                        ; standard.py:293:36 @[ attention_bwd.py:19:19 ]
	v_mov_b32_dpp v33, v33 row_shr:8 row_mask:0xf bank_mask:0xf bound_ctrl:1
.Ltmp26:
	.loc	2 263 15                        ; standard.py:263:15 @[ standard.py:293:36 @[ attention_bwd.py:19:19 ] ]
	v_fmac_f32_e32 v46, v57, v48
.Ltmp27:
	.loc	2 293 36                        ; standard.py:293:36 @[ attention_bwd.py:19:19 ]
	v_mov_b32_dpp v63, v63 row_shr:8 row_mask:0xf bank_mask:0xf bound_ctrl:1
.Ltmp28:
	.loc	1 19 23                         ; attention_bwd.py:19:23
	v_mul_f32_e32 v48, v60, v54
.Ltmp29:
	.loc	2 293 36                        ; standard.py:293:36 @[ attention_bwd.py:19:19 ]
	v_mov_b32_dpp v31, v31 row_shr:8 row_mask:0xf bank_mask:0xf bound_ctrl:1
.Ltmp30:
	.loc	2 263 15                        ; standard.py:263:15 @[ standard.py:293:36 @[ attention_bwd.py:19:19 ] ]
	v_fmac_f32_e32 v33, v41, v37
	v_add_f32_dpp v43, v43, v43 row_shr:2 row_mask:0xf bank_mask:0xf bound_ctrl:1
	v_dual_fmac_f32 v63, v59, v50 :: v_dual_mul_f32 v44, v58, v49
	s_delay_alu instid0(VALU_DEP_4) | instskip(NEXT) | instid1(VALU_DEP_4)
	v_fmac_f32_e32 v31, v40, v35
	v_add_f32_dpp v33, v33, v33 row_shr:4 row_mask:0xf bank_mask:0xf bound_ctrl:1
	s_delay_alu instid0(VALU_DEP_4)
	v_add_f32_dpp v43, v43, v43 row_shr:1 row_mask:0xf bank_mask:0xf bound_ctrl:1
	v_add_f32_dpp v32, v32, v32 row_shr:2 row_mask:0xf bank_mask:0xf bound_ctrl:1
.Ltmp31:
	.loc	2 293 36                        ; standard.py:293:36 @[ attention_bwd.py:19:19 ]
	v_mov_b32_dpp v44, v44 row_shr:8 row_mask:0xf bank_mask:0xf bound_ctrl:1
.Ltmp32:
	.loc	1 18 97                         ; attention_bwd.py:18:97
	v_lshlrev_b32_e32 v55, 16, v55
.Ltmp33:
	.loc	2 263 15                        ; standard.py:263:15 @[ standard.py:293:36 @[ attention_bwd.py:19:19 ] ]
	v_add_f32_dpp v33, v33, v33 row_shr:2 row_mask:0xf bank_mask:0xf bound_ctrl:1
	v_add_f32_dpp v31, v31, v31 row_shr:4 row_mask:0xf bank_mask:0xf bound_ctrl:1
	;; [unrolled: 1-line block ×3, first 2 shown]
	s_delay_alu instid0(VALU_DEP_4) | instskip(NEXT) | instid1(VALU_DEP_4)
	v_dual_fmac_f32 v44, v58, v49 :: v_dual_mul_f32 v57, v64, v55
	v_add_f32_dpp v33, v33, v33 row_shr:1 row_mask:0xf bank_mask:0xf bound_ctrl:1
.Ltmp34:
	.loc	1 19 23                         ; attention_bwd.py:19:23
	v_lshlrev_b32_e32 v86, 16, v86
	.loc	1 18 97                         ; attention_bwd.py:18:97
	v_lshlrev_b32_e32 v72, 16, v72
.Ltmp35:
	.loc	2 263 15                        ; standard.py:263:15 @[ standard.py:293:36 @[ attention_bwd.py:19:19 ] ]
	v_add_f32_dpp v31, v31, v31 row_shr:2 row_mask:0xf bank_mask:0xf bound_ctrl:1
.Ltmp36:
	.loc	2 293 36                        ; standard.py:293:36 @[ attention_bwd.py:19:19 ]
	v_mov_b32_dpp v57, v57 row_shr:8 row_mask:0xf bank_mask:0xf bound_ctrl:1
.Ltmp37:
	.loc	1 19 23                         ; attention_bwd.py:19:23
	v_mul_f32_e32 v45, v56, v47
.Ltmp38:
	.loc	2 293 36                        ; standard.py:293:36 @[ attention_bwd.py:19:19 ]
	v_mov_b32_dpp v48, v48 row_shr:8 row_mask:0xf bank_mask:0xf bound_ctrl:1
.Ltmp39:
	.loc	2 263 15                        ; standard.py:263:15 @[ standard.py:293:36 @[ attention_bwd.py:19:19 ] ]
	v_add_f32_dpp v36, v36, v36 row_shr:4 row_mask:0xf bank_mask:0xf bound_ctrl:1
	v_add_f32_dpp v31, v31, v31 row_shr:1 row_mask:0xf bank_mask:0xf bound_ctrl:1
	v_dual_fmac_f32 v57, v64, v55 :: v_dual_lshlrev_b32 v64, 16, v65
.Ltmp40:
	.loc	1 18 97                         ; attention_bwd.py:18:97
	v_lshlrev_b32_e32 v65, 16, v66
	.loc	1 19 23                         ; attention_bwd.py:19:23
	v_lshlrev_b32_e32 v66, 16, v67
	;; [unrolled: 2-line block ×3, first 2 shown]
	v_lshlrev_b32_e32 v68, 16, v69
	v_lshlrev_b32_e32 v69, 16, v70
	s_delay_alu instid0(VALU_DEP_4) | instskip(SKIP_3) | instid1(VALU_DEP_4)
	.loc	1 19 23                         ; attention_bwd.py:19:23
	v_dual_mul_f32 v71, v66, v64 :: v_dual_lshlrev_b32 v70, 16, v71
.Ltmp41:
	.loc	2 293 36                        ; standard.py:293:36 @[ attention_bwd.py:19:19 ]
	v_mov_b32_dpp v45, v45 row_shr:8 row_mask:0xf bank_mask:0xf bound_ctrl:1
.Ltmp42:
	.loc	2 263 15                        ; standard.py:263:15 @[ standard.py:293:36 @[ attention_bwd.py:19:19 ] ]
	v_dual_fmac_f32 v48, v60, v54 :: v_dual_lshlrev_b32 v53, 16, v53
.Ltmp43:
	.loc	1 18 97                         ; attention_bwd.py:18:97
	v_lshlrev_b32_e32 v51, 16, v51
.Ltmp44:
	.loc	2 293 36                        ; standard.py:293:36 @[ attention_bwd.py:19:19 ]
	v_mov_b32_dpp v71, v71 row_shr:8 row_mask:0xf bank_mask:0xf bound_ctrl:1
	s_delay_alu instid0(VALU_DEP_4)
.Ltmp45:
	.loc	2 263 15                        ; standard.py:263:15 @[ standard.py:293:36 @[ attention_bwd.py:19:19 ] ]
	v_fmac_f32_e32 v45, v56, v47
	v_add_f32_dpp v52, v52, v52 row_shr:4 row_mask:0xf bank_mask:0xf bound_ctrl:1
	v_add_f32_dpp v46, v46, v46 row_shr:4 row_mask:0xf bank_mask:0xf bound_ctrl:1
	;; [unrolled: 1-line block ×3, first 2 shown]
	v_dual_fmac_f32 v71, v66, v64 :: v_dual_mul_f32 v64, v76, v65
.Ltmp46:
	.loc	1 19 23                         ; attention_bwd.py:19:23
	v_lshlrev_b32_e32 v66, 16, v80
	v_lshlrev_b32_e32 v80, 16, v81
	;; [unrolled: 1-line block ×4, first 2 shown]
.Ltmp47:
	.loc	2 293 36                        ; standard.py:293:36 @[ attention_bwd.py:19:19 ]
	v_mov_b32_dpp v64, v64 row_shr:8 row_mask:0xf bank_mask:0xf bound_ctrl:1
.Ltmp48:
	.loc	2 263 15                        ; standard.py:263:15 @[ standard.py:293:36 @[ attention_bwd.py:19:19 ] ]
	v_add_f32_dpp v45, v45, v45 row_shr:4 row_mask:0xf bank_mask:0xf bound_ctrl:1
.Ltmp49:
	.loc	1 19 23                         ; attention_bwd.py:19:23
	v_mul_f32_e32 v56, v62, v53
.Ltmp50:
	.loc	2 263 15                        ; standard.py:263:15 @[ standard.py:293:36 @[ attention_bwd.py:19:19 ] ]
	v_add_f32_dpp v36, v36, v36 row_shr:2 row_mask:0xf bank_mask:0xf bound_ctrl:1
	v_add_f32_dpp v52, v52, v52 row_shr:2 row_mask:0xf bank_mask:0xf bound_ctrl:1
	v_dual_fmac_f32 v64, v76, v65 :: v_dual_mul_f32 v65, v66, v68
	v_add_f32_dpp v45, v45, v45 row_shr:2 row_mask:0xf bank_mask:0xf bound_ctrl:1
	v_add_f32_dpp v46, v46, v46 row_shr:2 row_mask:0xf bank_mask:0xf bound_ctrl:1
	;; [unrolled: 1-line block ×3, first 2 shown]
.Ltmp51:
	.loc	2 293 36                        ; standard.py:293:36 @[ attention_bwd.py:19:19 ]
	v_mov_b32_dpp v56, v56 row_shr:8 row_mask:0xf bank_mask:0xf bound_ctrl:1
	v_mov_b32_dpp v65, v65 row_shr:8 row_mask:0xf bank_mask:0xf bound_ctrl:1
.Ltmp52:
	.loc	1 18 97                         ; attention_bwd.py:18:97
	v_lshlrev_b32_e32 v74, 16, v74
.Ltmp53:
	.loc	2 263 15                        ; standard.py:263:15 @[ standard.py:293:36 @[ attention_bwd.py:19:19 ] ]
	v_add_f32_dpp v45, v45, v45 row_shr:1 row_mask:0xf bank_mask:0xf bound_ctrl:1
	v_add_f32_dpp v36, v36, v36 row_shr:1 row_mask:0xf bank_mask:0xf bound_ctrl:1
	v_add_f32_dpp v52, v52, v52 row_shr:1 row_mask:0xf bank_mask:0xf bound_ctrl:1
	v_fmac_f32_e32 v65, v66, v68
.Ltmp54:
	.loc	1 19 23                         ; attention_bwd.py:19:23
	v_dual_mul_f32 v68, v85, v74 :: v_dual_lshlrev_b32 v73, 16, v73
.Ltmp55:
	.loc	2 263 15                        ; standard.py:263:15 @[ standard.py:293:36 @[ attention_bwd.py:19:19 ] ]
	v_add_f32_dpp v46, v46, v46 row_shr:1 row_mask:0xf bank_mask:0xf bound_ctrl:1
	v_add_f32_dpp v44, v44, v44 row_shr:1 row_mask:0xf bank_mask:0xf bound_ctrl:1
.Ltmp56:
	.loc	1 18 97                         ; attention_bwd.py:18:97
	s_clause 0xa
	global_load_u16 v34, v3, s[6:7] offset:14336
	global_load_u16 v35, v3, s[6:7] offset:14592
	;; [unrolled: 1-line block ×11, first 2 shown]
.Ltmp57:
	.loc	2 293 36                        ; standard.py:293:36 @[ attention_bwd.py:19:19 ]
	v_mov_b32_dpp v68, v68 row_shr:8 row_mask:0xf bank_mask:0xf bound_ctrl:1
.Ltmp58:
	.loc	1 19 23                         ; attention_bwd.py:19:23
	v_dual_mul_f32 v84, v79, v67 :: v_dual_lshlrev_b32 v83, 16, v84
	v_mul_f32_e32 v47, v61, v51
.Ltmp59:
	.loc	2 263 15                        ; standard.py:263:15 @[ standard.py:293:36 @[ attention_bwd.py:19:19 ] ]
	v_add_f32_dpp v8, v63, v63 row_shr:4 row_mask:0xf bank_mask:0xf bound_ctrl:1
	s_delay_alu instid0(VALU_DEP_4) | instskip(NEXT) | instid1(VALU_DEP_4)
	v_fmac_f32_e32 v68, v85, v74
.Ltmp60:
	.loc	1 19 23                         ; attention_bwd.py:19:23
	v_mul_f32_e32 v66, v83, v73
.Ltmp61:
	.loc	2 293 36                        ; standard.py:293:36 @[ attention_bwd.py:19:19 ]
	v_mov_b32_dpp v76, v84 row_shr:8 row_mask:0xf bank_mask:0xf bound_ctrl:1
.Ltmp62:
	.loc	1 19 23                         ; attention_bwd.py:19:23
	v_lshlrev_b32_e32 v84, 16, v87
.Ltmp63:
	.loc	2 293 36                        ; standard.py:293:36 @[ attention_bwd.py:19:19 ]
	v_mov_b32_dpp v47, v47 row_shr:8 row_mask:0xf bank_mask:0xf bound_ctrl:1
.Ltmp64:
	.loc	2 263 15                        ; standard.py:263:15 @[ standard.py:293:36 @[ attention_bwd.py:19:19 ] ]
	v_add_f32_dpp v68, v68, v68 row_shr:4 row_mask:0xf bank_mask:0xf bound_ctrl:1
.Ltmp65:
	.loc	2 293 36                        ; standard.py:293:36 @[ attention_bwd.py:19:19 ]
	v_mov_b32_dpp v66, v66 row_shr:8 row_mask:0xf bank_mask:0xf bound_ctrl:1
.Ltmp66:
	.loc	2 263 15                        ; standard.py:263:15 @[ standard.py:293:36 @[ attention_bwd.py:19:19 ] ]
	v_dual_fmac_f32 v76, v79, v67 :: v_dual_lshlrev_b32 v87, 16, v88
.Ltmp67:
	.loc	1 19 23                         ; attention_bwd.py:19:23
	v_dual_mul_f32 v88, v80, v69 :: v_dual_mul_f32 v67, v81, v70
	s_delay_alu instid0(VALU_DEP_3) | instskip(SKIP_1) | instid1(VALU_DEP_3)
.Ltmp68:
	.loc	2 263 15                        ; standard.py:263:15 @[ standard.py:293:36 @[ attention_bwd.py:19:19 ] ]
	v_dual_fmac_f32 v66, v83, v73 :: v_dual_fmac_f32 v47, v61, v51
	v_fmac_f32_e32 v56, v62, v53
.Ltmp69:
	.loc	2 293 36                        ; standard.py:293:36 @[ attention_bwd.py:19:19 ]
	v_mov_b32_dpp v88, v88 row_shr:8 row_mask:0xf bank_mask:0xf bound_ctrl:1
	s_delay_alu instid0(VALU_DEP_4)
	v_mov_b32_dpp v67, v67 row_shr:8 row_mask:0xf bank_mask:0xf bound_ctrl:1
.Ltmp70:
	.loc	1 19 23                         ; attention_bwd.py:19:23
	s_clause 0x7
	global_load_u16 v51, v3, s[4:5] offset:8192
	global_load_u16 v53, v3, s[4:5] offset:8448
	;; [unrolled: 1-line block ×8, first 2 shown]
.Ltmp71:
	.loc	2 263 15                        ; standard.py:263:15 @[ standard.py:293:36 @[ attention_bwd.py:19:19 ] ]
	v_add_f32_dpp v10, v47, v47 row_shr:4 row_mask:0xf bank_mask:0xf bound_ctrl:1
	v_add_f32_dpp v47, v71, v71 row_shr:4 row_mask:0xf bank_mask:0xf bound_ctrl:1
	v_dual_fmac_f32 v88, v80, v69 :: v_dual_mul_f32 v69, v86, v75
.Ltmp72:
	.loc	1 19 23                         ; attention_bwd.py:19:23
	v_mul_f32_e32 v79, v82, v72
.Ltmp73:
	.loc	2 263 15                        ; standard.py:263:15 @[ standard.py:293:36 @[ attention_bwd.py:19:19 ] ]
	v_fmac_f32_e32 v67, v81, v70
	v_add_f32_dpp v12, v10, v10 row_shr:2 row_mask:0xf bank_mask:0xf bound_ctrl:1
	v_add_f32_dpp v47, v47, v47 row_shr:2 row_mask:0xf bank_mask:0xf bound_ctrl:1
.Ltmp74:
	.loc	2 293 36                        ; standard.py:293:36 @[ attention_bwd.py:19:19 ]
	v_mov_b32_dpp v69, v69 row_shr:8 row_mask:0xf bank_mask:0xf bound_ctrl:1
	v_mov_b32_dpp v79, v79 row_shr:8 row_mask:0xf bank_mask:0xf bound_ctrl:1
.Ltmp75:
	.loc	1 18 97                         ; attention_bwd.py:18:97
	v_lshlrev_b32_e32 v78, 16, v78
.Ltmp76:
	.loc	2 263 15                        ; standard.py:263:15 @[ standard.py:293:36 @[ attention_bwd.py:19:19 ] ]
	v_add_f32_dpp v66, v66, v66 row_shr:4 row_mask:0xf bank_mask:0xf bound_ctrl:1
	v_add_f32_dpp v47, v47, v47 row_shr:1 row_mask:0xf bank_mask:0xf bound_ctrl:1
	s_wait_loadcnt 0x1c
	v_dual_fmac_f32 v79, v82, v72 :: v_dual_lshlrev_b32 v110, 16, v21
.Ltmp77:
	.loc	1 19 23                         ; attention_bwd.py:19:23
	v_dual_mul_f32 v70, v87, v78 :: v_dual_lshlrev_b32 v77, 16, v77
	s_delay_alu instid0(VALU_DEP_1) | instskip(NEXT) | instid1(VALU_DEP_1)
.Ltmp78:
	.loc	2 293 36                        ; standard.py:293:36 @[ attention_bwd.py:19:19 ]
	v_mov_b32_dpp v70, v70 row_shr:8 row_mask:0xf bank_mask:0xf bound_ctrl:1
.Ltmp79:
	.loc	2 263 15                        ; standard.py:263:15 @[ standard.py:293:36 @[ attention_bwd.py:19:19 ] ]
	v_fmac_f32_e32 v70, v87, v78
	v_add_f32_dpp v78, v90, v90 row_shr:4 row_mask:0xf bank_mask:0xf bound_ctrl:1
.Ltmp80:
	.loc	2 293 36                        ; standard.py:293:36 @[ attention_bwd.py:19:19 ]
	v_permlanex16_b32 v90, v31, -1, -1 op_sel:[1,0]
	s_delay_alu instid0(VALU_DEP_3) | instskip(NEXT) | instid1(VALU_DEP_3)
.Ltmp81:
	.loc	2 263 15                        ; standard.py:263:15 @[ standard.py:293:36 @[ attention_bwd.py:19:19 ] ]
	v_add_f32_dpp v70, v70, v70 row_shr:4 row_mask:0xf bank_mask:0xf bound_ctrl:1
	v_add_f32_dpp v78, v78, v78 row_shr:2 row_mask:0xf bank_mask:0xf bound_ctrl:1
	s_delay_alu instid0(VALU_DEP_3) | instskip(SKIP_1) | instid1(VALU_DEP_3)
	v_dual_add_f32 v31, v31, v90 :: v_dual_mul_f32 v80, v84, v77
.Ltmp82:
	.loc	2 293 36                        ; standard.py:293:36 @[ attention_bwd.py:19:19 ]
	v_permlanex16_b32 v90, v52, -1, -1 op_sel:[1,0]
.Ltmp83:
	.loc	2 263 15                        ; standard.py:263:15 @[ standard.py:293:36 @[ attention_bwd.py:19:19 ] ]
	v_add_f32_dpp v78, v78, v78 row_shr:1 row_mask:0xf bank_mask:0xf bound_ctrl:1
	s_delay_alu instid0(VALU_DEP_3) | instskip(NEXT) | instid1(VALU_DEP_4)
.Ltmp84:
	.loc	2 293 36                        ; standard.py:293:36 @[ attention_bwd.py:19:19 ]
	v_readlane_b32 s13, v31, 31
	v_mov_b32_dpp v80, v80 row_shr:8 row_mask:0xf bank_mask:0xf bound_ctrl:1
	s_delay_alu instid0(VALU_DEP_4) | instskip(NEXT) | instid1(VALU_DEP_4)
.Ltmp85:
	.loc	2 263 15                        ; standard.py:263:15 @[ standard.py:293:36 @[ attention_bwd.py:19:19 ] ]
	v_add_f32_e32 v52, v52, v90
.Ltmp86:
	.loc	2 293 36                        ; standard.py:293:36 @[ attention_bwd.py:19:19 ]
	v_permlanex16_b32 v87, v78, -1, -1 op_sel:[1,0]
	s_delay_alu instid0(VALU_DEP_3)
.Ltmp87:
	.loc	2 263 15                        ; standard.py:263:15 @[ standard.py:293:36 @[ attention_bwd.py:19:19 ] ]
	v_fmac_f32_e32 v80, v84, v77
	v_add_f32_dpp v77, v89, v89 row_shr:4 row_mask:0xf bank_mask:0xf bound_ctrl:1
	v_add_f32_dpp v84, v91, v91 row_shr:4 row_mask:0xf bank_mask:0xf bound_ctrl:1
.Ltmp88:
	.loc	2 293 36                        ; standard.py:293:36 @[ attention_bwd.py:19:19 ]
	v_permlanex16_b32 v91, v33, -1, -1 op_sel:[1,0]
	v_permlanex16_b32 v89, v43, -1, -1 op_sel:[1,0]
.Ltmp89:
	.loc	2 263 15                        ; standard.py:263:15 @[ standard.py:293:36 @[ attention_bwd.py:19:19 ] ]
	v_add_f32_e32 v78, v78, v87
	v_add_f32_dpp v77, v77, v77 row_shr:2 row_mask:0xf bank_mask:0xf bound_ctrl:1
	v_add_f32_dpp v84, v84, v84 row_shr:2 row_mask:0xf bank_mask:0xf bound_ctrl:1
	v_add_f32_e32 v33, v33, v91
	v_fmac_f32_e32 v69, v86, v75
	v_add_f32_e32 v43, v43, v89
	v_add_f32_dpp v77, v77, v77 row_shr:1 row_mask:0xf bank_mask:0xf bound_ctrl:1
	v_add_f32_dpp v84, v84, v84 row_shr:1 row_mask:0xf bank_mask:0xf bound_ctrl:1
.Ltmp90:
	.loc	2 293 36                        ; standard.py:293:36 @[ attention_bwd.py:19:19 ]
	v_readlane_b32 s10, v33, 31
	v_permlanex16_b32 v89, v36, -1, -1 op_sel:[1,0]
	v_permlanex16_b32 v91, v45, -1, -1 op_sel:[1,0]
	;; [unrolled: 1-line block ×4, first 2 shown]
.Ltmp91:
	.loc	1 19 23                         ; attention_bwd.py:19:23
	s_clause 0x7
	global_load_u16 v72, v3, s[4:5] offset:10240
	global_load_u16 v73, v3, s[4:5] offset:10496
	;; [unrolled: 1-line block ×8, first 2 shown]
.Ltmp92:
	.loc	2 263 15                        ; standard.py:263:15 @[ standard.py:293:36 @[ attention_bwd.py:19:19 ] ]
	v_dual_add_f32 v36, v36, v89 :: v_dual_add_f32 v45, v45, v91
	v_add_f32_e32 v77, v77, v86
.Ltmp93:
	.loc	2 293 36                        ; standard.py:293:36 @[ attention_bwd.py:19:19 ]
	v_permlanex16_b32 v86, v32, -1, -1 op_sel:[1,0]
.Ltmp94:
	.loc	2 263 15                        ; standard.py:263:15 @[ standard.py:293:36 @[ attention_bwd.py:19:19 ] ]
	v_add_f32_e32 v84, v84, v87
.Ltmp95:
	.loc	2 293 36                        ; standard.py:293:36 @[ attention_bwd.py:19:19 ]
	v_permlanex16_b32 v87, v44, -1, -1 op_sel:[1,0]
	v_readlane_b32 s7, v78, 31
	v_readlane_b32 s8, v77, 31
.Ltmp96:
	.loc	2 263 15                        ; standard.py:263:15 @[ standard.py:293:36 @[ attention_bwd.py:19:19 ] ]
	v_add_f32_e32 v32, v32, v86
.Ltmp97:
	.loc	2 293 36                        ; standard.py:293:36 @[ attention_bwd.py:19:19 ]
	v_permlanex16_b32 v86, v46, -1, -1 op_sel:[1,0]
.Ltmp98:
	.loc	2 263 15                        ; standard.py:263:15 @[ standard.py:293:36 @[ attention_bwd.py:19:19 ] ]
	v_add_f32_e32 v44, v44, v87
.Ltmp99:
	.loc	2 293 36                        ; standard.py:293:36 @[ attention_bwd.py:19:19 ]
	v_readlane_b32 s6, v43, 31
	v_readlane_b32 s11, v84, 31
	;; [unrolled: 1-line block ×3, first 2 shown]
.Ltmp100:
	.loc	1 19 23                         ; attention_bwd.py:19:23
	s_clause 0x2
	global_load_u16 v31, v3, s[4:5] offset:14336
	global_load_u16 v32, v3, s[4:5] offset:14592
	;; [unrolled: 1-line block ×3, first 2 shown]
.Ltmp101:
	.loc	2 263 15                        ; standard.py:263:15 @[ standard.py:293:36 @[ attention_bwd.py:19:19 ] ]
	v_add_f32_e32 v46, v46, v86
.Ltmp102:
	.loc	1 19 23                         ; attention_bwd.py:19:23
	s_clause 0x7
	global_load_u16 v43, v3, s[4:5] offset:12288
	global_load_u16 v77, v3, s[4:5] offset:12544
	;; [unrolled: 1-line block ×8, first 2 shown]
.Ltmp103:
	.loc	2 293 36                        ; standard.py:293:36 @[ attention_bwd.py:19:19 ]
	v_readlane_b32 s12, v36, 31
.Ltmp104:
	.loc	1 19 23                         ; attention_bwd.py:19:23
	s_clause 0x1
	global_load_u16 v36, v3, s[4:5] offset:15104
	global_load_u16 v84, v3, s[4:5] offset:15360
.Ltmp105:
	.loc	2 293 36                        ; standard.py:293:36 @[ attention_bwd.py:19:19 ]
	v_readlane_b32 s15, v45, 31
.Ltmp106:
	.loc	1 19 23                         ; attention_bwd.py:19:23
	s_clause 0x1
	global_load_u16 v45, v3, s[4:5] offset:15872
	global_load_u16 v92, v3, s[4:5] offset:16128
.Ltmp107:
	.loc	2 293 36                        ; standard.py:293:36 @[ attention_bwd.py:19:19 ]
	v_readlane_b32 s14, v52, 31
.Ltmp108:
	.loc	1 19 23                         ; attention_bwd.py:19:23
	global_load_u16 v52, v3, s[4:5] offset:15616
.Ltmp109:
	.loc	2 293 36                        ; standard.py:293:36 @[ attention_bwd.py:19:19 ]
	v_readlane_b32 s4, v46, 31
.Ltmp110:
	.loc	2 263 15                        ; standard.py:263:15 @[ standard.py:293:36 @[ attention_bwd.py:19:19 ] ]
	v_add_f32_dpp v46, v57, v57 row_shr:4 row_mask:0xf bank_mask:0xf bound_ctrl:1
	v_add_f32_dpp v57, v65, v65 row_shr:4 row_mask:0xf bank_mask:0xf bound_ctrl:1
	;; [unrolled: 1-line block ×5, first 2 shown]
.Ltmp111:
	.loc	2 293 36                        ; standard.py:293:36 @[ attention_bwd.py:19:19 ]
	v_readlane_b32 s5, v44, 31
.Ltmp112:
	.loc	2 263 15                        ; standard.py:263:15 @[ standard.py:293:36 @[ attention_bwd.py:19:19 ] ]
	v_add_f32_dpp v57, v57, v57 row_shr:2 row_mask:0xf bank_mask:0xf bound_ctrl:1
	s_delay_alu instid0(VALU_DEP_4) | instskip(NEXT) | instid1(VALU_DEP_4)
	v_add_f32_dpp v67, v67, v67 row_shr:2 row_mask:0xf bank_mask:0xf bound_ctrl:1
	v_add_f32_dpp v69, v69, v69 row_shr:2 row_mask:0xf bank_mask:0xf bound_ctrl:1
	s_delay_alu instid0(VALU_DEP_3) | instskip(NEXT) | instid1(VALU_DEP_3)
	v_add_f32_dpp v57, v57, v57 row_shr:1 row_mask:0xf bank_mask:0xf bound_ctrl:1
	v_add_f32_dpp v67, v67, v67 row_shr:1 row_mask:0xf bank_mask:0xf bound_ctrl:1
	s_delay_alu instid0(VALU_DEP_3)
	v_add_f32_dpp v69, v69, v69 row_shr:1 row_mask:0xf bank_mask:0xf bound_ctrl:1
.Ltmp113:
	.loc	1 18 97                         ; attention_bwd.py:18:97
	s_wait_loadcnt 0x2a
	v_lshlrev_b32_e32 v16, 16, v34
	.loc	1 19 23                         ; attention_bwd.py:19:23
	s_wait_loadcnt 0x1f
	v_lshlrev_b32_e32 v34, 16, v51
	.loc	1 18 97                         ; attention_bwd.py:18:97
	v_lshlrev_b32_e32 v111, 16, v22
	.loc	1 19 23                         ; attention_bwd.py:19:23
	s_wait_loadcnt 0xe
	v_lshlrev_b32_e32 v21, 16, v32
	s_wait_loadcnt 0xd
	v_lshlrev_b32_e32 v22, 16, v33
.Ltmp114:
	.loc	2 263 15                        ; standard.py:263:15 @[ standard.py:293:36 @[ attention_bwd.py:19:19 ] ]
	v_add_f32_dpp v32, v56, v56 row_shr:4 row_mask:0xf bank_mask:0xf bound_ctrl:1
	v_add_f32_dpp v33, v12, v12 row_shr:1 row_mask:0xf bank_mask:0xf bound_ctrl:1
	;; [unrolled: 1-line block ×3, first 2 shown]
	s_delay_alu instid0(VALU_DEP_3) | instskip(NEXT) | instid1(VALU_DEP_3)
	v_add_f32_dpp v32, v32, v32 row_shr:2 row_mask:0xf bank_mask:0xf bound_ctrl:1
.Ltmp115:
	.loc	2 293 36                        ; standard.py:293:36 @[ attention_bwd.py:19:19 ]
	v_permlanex16_b32 v44, v33, -1, -1 op_sel:[1,0]
.Ltmp116:
	.loc	1 18 97                         ; attention_bwd.py:18:97
	v_lshlrev_b32_e32 v96, 16, v7
	v_lshlrev_b32_e32 v7, 16, v41
	.loc	1 19 23                         ; attention_bwd.py:19:23
	v_lshlrev_b32_e32 v41, 16, v61
	s_wait_loadcnt 0xa
	v_lshlrev_b32_e32 v61, 16, v78
.Ltmp117:
	.loc	2 263 15                        ; standard.py:263:15 @[ standard.py:293:36 @[ attention_bwd.py:19:19 ] ]
	v_add_f32_dpp v32, v32, v32 row_shr:1 row_mask:0xf bank_mask:0xf bound_ctrl:1
.Ltmp118:
	.loc	1 18 97                         ; attention_bwd.py:18:97
	v_lshlrev_b32_e32 v102, 16, v13
.Ltmp119:
	.loc	2 263 15                        ; standard.py:263:15 @[ standard.py:293:36 @[ attention_bwd.py:19:19 ] ]
	v_dual_add_f32 v33, v33, v44 :: v_dual_lshlrev_b32 v104, 16, v15
.Ltmp120:
	.loc	1 19 23                         ; attention_bwd.py:19:23
	v_lshlrev_b32_e32 v51, 16, v74
	.loc	1 18 97                         ; attention_bwd.py:18:97
	v_lshlrev_b32_e32 v14, 16, v29
	;; [unrolled: 2-line block ×5, first 2 shown]
	v_lshlrev_b32_e32 v54, 16, v81
	.loc	1 18 97                         ; attention_bwd.py:18:97
	v_lshlrev_b32_e32 v4, 16, v38
	.loc	1 19 23                         ; attention_bwd.py:19:23
	;; [unrolled: 2-line block ×5, first 2 shown]
	v_lshlrev_b32_e32 v98, 16, v9
	v_lshlrev_b32_e32 v100, 16, v11
.Ltmp121:
	.loc	2 263 15                        ; standard.py:263:15 @[ standard.py:293:36 @[ attention_bwd.py:19:19 ] ]
	v_add_f32_dpp v11, v8, v8 row_shr:2 row_mask:0xf bank_mask:0xf bound_ctrl:1
.Ltmp122:
	.loc	1 18 97                         ; attention_bwd.py:18:97
	v_lshlrev_b32_e32 v109, 16, v20
	.loc	1 19 23                         ; attention_bwd.py:19:23
	v_lshlrev_b32_e32 v20, 16, v31
	s_wait_loadcnt 0x4
	v_lshlrev_b32_e32 v8, 16, v36
.Ltmp123:
	.loc	2 293 36                        ; standard.py:293:36 @[ attention_bwd.py:19:19 ]
	v_readlane_b32 s17, v33, 31
.Ltmp124:
	.loc	2 263 15                        ; standard.py:263:15 @[ standard.py:293:36 @[ attention_bwd.py:19:19 ] ]
	v_add_f32_dpp v31, v11, v11 row_shr:1 row_mask:0xf bank_mask:0xf bound_ctrl:1
.Ltmp125:
	.loc	1 19 23                         ; attention_bwd.py:19:23
	s_wait_loadcnt 0x2
	v_lshlrev_b32_e32 v11, 16, v45
.Ltmp126:
	.loc	2 263 15                        ; standard.py:263:15 @[ standard.py:293:36 @[ attention_bwd.py:19:19 ] ]
	v_add_f32_dpp v45, v48, v48 row_shr:4 row_mask:0xf bank_mask:0xf bound_ctrl:1
.Ltmp127:
	.loc	1 19 23                         ; attention_bwd.py:19:23
	v_lshlrev_b32_e32 v55, 16, v82
	v_lshlrev_b32_e32 v9, 16, v84
.Ltmp128:
	.loc	2 293 36                        ; standard.py:293:36 @[ attention_bwd.py:19:19 ]
	v_permlanex16_b32 v36, v31, -1, -1 op_sel:[1,0]
.Ltmp129:
	.loc	1 18 97                         ; attention_bwd.py:18:97
	v_lshlrev_b32_e32 v94, 16, v5
.Ltmp130:
	.loc	2 263 15                        ; standard.py:263:15 @[ standard.py:293:36 @[ attention_bwd.py:19:19 ] ]
	v_add_f32_dpp v33, v45, v45 row_shr:2 row_mask:0xf bank_mask:0xf bound_ctrl:1
.Ltmp131:
	.loc	1 19 23                         ; attention_bwd.py:19:23
	v_mul_f32_e32 v45, v30, v95
	s_delay_alu instid0(VALU_DEP_3) | instskip(NEXT) | instid1(VALU_DEP_3)
.Ltmp132:
	.loc	2 263 15                        ; standard.py:263:15 @[ standard.py:293:36 @[ attention_bwd.py:19:19 ] ]
	v_dual_add_f32 v31, v31, v36 :: v_dual_mul_f32 v44, v29, v94
	v_add_f32_dpp v33, v33, v33 row_shr:1 row_mask:0xf bank_mask:0xf bound_ctrl:1
	s_delay_alu instid0(VALU_DEP_3) | instskip(SKIP_1) | instid1(VALU_DEP_4)
.Ltmp133:
	.loc	2 293 36                        ; standard.py:293:36 @[ attention_bwd.py:19:19 ]
	v_mov_b32_dpp v45, v45 row_shr:8 row_mask:0xf bank_mask:0xf bound_ctrl:1
.Ltmp134:
	.loc	1 18 97                         ; attention_bwd.py:18:97
	v_lshlrev_b32_e32 v26, 16, v26
.Ltmp135:
	.loc	2 293 36                        ; standard.py:293:36 @[ attention_bwd.py:19:19 ]
	v_readlane_b32 s16, v31, 31
	v_permlanex16_b32 v31, v32, -1, -1 op_sel:[1,0]
.Ltmp136:
	.loc	1 18 97                         ; attention_bwd.py:18:97
	v_lshlrev_b32_e32 v6, 16, v40
	.loc	1 19 23                         ; attention_bwd.py:19:23
	v_lshlrev_b32_e32 v40, 16, v60
	;; [unrolled: 2-line block ×4, first 2 shown]
.Ltmp137:
	.loc	2 263 15                        ; standard.py:263:15 @[ standard.py:293:36 @[ attention_bwd.py:19:19 ] ]
	v_add_f32_e32 v31, v32, v31
.Ltmp138:
	.loc	1 19 23                         ; attention_bwd.py:19:23
	v_dual_mul_f32 v63, v41, v102 :: v_dual_lshlrev_b32 v112, 16, v23
.Ltmp139:
	.loc	2 263 15                        ; standard.py:263:15 @[ standard.py:293:36 @[ attention_bwd.py:19:19 ] ]
	v_fmac_f32_e32 v45, v30, v95
	v_add_f32_dpp v32, v46, v46 row_shr:2 row_mask:0xf bank_mask:0xf bound_ctrl:1
	s_delay_alu instid0(VALU_DEP_4)
.Ltmp140:
	.loc	2 293 36                        ; standard.py:293:36 @[ attention_bwd.py:19:19 ]
	v_readlane_b32 s18, v31, 31
	v_permlanex16_b32 v31, v33, -1, -1 op_sel:[1,0]
.Ltmp141:
	.loc	1 18 97                         ; attention_bwd.py:18:97
	v_lshlrev_b32_e32 v106, 16, v17
	.loc	1 19 23                         ; attention_bwd.py:19:23
	v_mul_f32_e32 v46, v34, v96
.Ltmp142:
	.loc	2 263 15                        ; standard.py:263:15 @[ standard.py:293:36 @[ attention_bwd.py:19:19 ] ]
	v_add_f32_dpp v32, v32, v32 row_shr:1 row_mask:0xf bank_mask:0xf bound_ctrl:1
.Ltmp143:
	.loc	2 293 36                        ; standard.py:293:36 @[ attention_bwd.py:19:19 ]
	v_mov_b32_dpp v44, v44 row_shr:8 row_mask:0xf bank_mask:0xf bound_ctrl:1
.Ltmp144:
	.loc	2 263 15                        ; standard.py:263:15 @[ standard.py:293:36 @[ attention_bwd.py:19:19 ] ]
	v_add_f32_e32 v31, v33, v31
.Ltmp145:
	.loc	1 19 23                         ; attention_bwd.py:19:23
	v_mul_f32_e32 v33, v37, v98
	.loc	1 18 97                         ; attention_bwd.py:18:97
	v_lshlrev_b32_e32 v17, 16, v35
	.loc	1 19 23                         ; attention_bwd.py:19:23
	v_lshlrev_b32_e32 v35, 16, v53
	;; [unrolled: 2-line block ×3, first 2 shown]
.Ltmp146:
	.loc	2 293 36                        ; standard.py:293:36 @[ attention_bwd.py:19:19 ]
	v_mov_b32_dpp v46, v46 row_shr:8 row_mask:0xf bank_mask:0xf bound_ctrl:1
	v_mov_b32_dpp v33, v33 row_shr:8 row_mask:0xf bank_mask:0xf bound_ctrl:1
.Ltmp147:
	.loc	1 19 23                         ; attention_bwd.py:19:23
	v_lshlrev_b32_e32 v50, 16, v73
	.loc	1 18 97                         ; attention_bwd.py:18:97
	v_lshlrev_b32_e32 v3, 16, v42
	;; [unrolled: 2-line block ×3, first 2 shown]
	v_lshlrev_b32_e32 v62, 16, v86
	v_lshlrev_b32_e32 v28, 16, v49
.Ltmp148:
	.loc	2 263 15                        ; standard.py:263:15 @[ standard.py:293:36 @[ attention_bwd.py:19:19 ] ]
	v_dual_fmac_f32 v46, v34, v96 :: v_dual_lshlrev_b32 v107, 16, v18
.Ltmp149:
	.loc	1 19 23                         ; attention_bwd.py:19:23
	s_wait_loadcnt 0x0
	v_lshlrev_b32_e32 v10, 16, v52
.Ltmp150:
	.loc	2 263 15                        ; standard.py:263:15 @[ standard.py:293:36 @[ attention_bwd.py:19:19 ] ]
	v_add_f32_dpp v52, v64, v64 row_shr:4 row_mask:0xf bank_mask:0xf bound_ctrl:1
.Ltmp151:
	.loc	1 19 23                         ; attention_bwd.py:19:23
	v_mul_f32_e32 v36, v28, v93
.Ltmp152:
	.loc	2 293 36                        ; standard.py:293:36 @[ attention_bwd.py:19:19 ]
	v_readlane_b32 s19, v31, 31
	v_permlanex16_b32 v31, v47, -1, -1 op_sel:[1,0]
.Ltmp153:
	.loc	2 263 15                        ; standard.py:263:15 @[ standard.py:293:36 @[ attention_bwd.py:19:19 ] ]
	v_add_f32_dpp v64, v88, v88 row_shr:4 row_mask:0xf bank_mask:0xf bound_ctrl:1
.Ltmp154:
	.loc	2 293 36                        ; standard.py:293:36 @[ attention_bwd.py:19:19 ]
	v_mov_b32_dpp v63, v63 row_shr:8 row_mask:0xf bank_mask:0xf bound_ctrl:1
	v_mov_b32_dpp v36, v36 row_shr:8 row_mask:0xf bank_mask:0xf bound_ctrl:1
.Ltmp155:
	.loc	1 18 97                         ; attention_bwd.py:18:97
	v_lshlrev_b32_e32 v27, 16, v27
.Ltmp156:
	.loc	2 263 15                        ; standard.py:263:15 @[ standard.py:293:36 @[ attention_bwd.py:19:19 ] ]
	v_add_f32_e32 v31, v47, v31
	v_add_f32_dpp v47, v56, v56 row_shr:2 row_mask:0xf bank_mask:0xf bound_ctrl:1
.Ltmp157:
	.loc	1 19 23                         ; attention_bwd.py:19:23
	v_lshlrev_b32_e32 v60, 16, v77
.Ltmp158:
	.loc	2 263 15                        ; standard.py:263:15 @[ standard.py:293:36 @[ attention_bwd.py:19:19 ] ]
	v_fmac_f32_e32 v36, v28, v93
.Ltmp159:
	.loc	2 293 36                        ; standard.py:293:36 @[ attention_bwd.py:19:19 ]
	v_permlanex16_b32 v28, v32, -1, -1 op_sel:[1,0]
.Ltmp160:
	.loc	1 18 97                         ; attention_bwd.py:18:97
	v_lshlrev_b32_e32 v25, 16, v25
.Ltmp161:
	.loc	2 293 36                        ; standard.py:293:36 @[ attention_bwd.py:19:19 ]
	v_readlane_b32 s21, v31, 31
.Ltmp162:
	.loc	2 263 15                        ; standard.py:263:15 @[ standard.py:293:36 @[ attention_bwd.py:19:19 ] ]
	v_add_f32_dpp v47, v47, v47 row_shr:1 row_mask:0xf bank_mask:0xf bound_ctrl:1
	v_add_f32_dpp v36, v36, v36 row_shr:4 row_mask:0xf bank_mask:0xf bound_ctrl:1
	v_add_f32_e32 v28, v32, v28
	s_delay_alu instid0(VALU_DEP_2) | instskip(NEXT) | instid1(VALU_DEP_2)
	v_add_f32_dpp v36, v36, v36 row_shr:2 row_mask:0xf bank_mask:0xf bound_ctrl:1
.Ltmp163:
	.loc	2 293 36                        ; standard.py:293:36 @[ attention_bwd.py:19:19 ]
	v_readlane_b32 s20, v28, 31
.Ltmp164:
	.loc	2 263 15                        ; standard.py:263:15 @[ standard.py:293:36 @[ attention_bwd.py:19:19 ] ]
	v_add_f32_dpp v28, v52, v52 row_shr:2 row_mask:0xf bank_mask:0xf bound_ctrl:1
	s_delay_alu instid0(VALU_DEP_3) | instskip(NEXT) | instid1(VALU_DEP_2)
	v_add_f32_dpp v36, v36, v36 row_shr:1 row_mask:0xf bank_mask:0xf bound_ctrl:1
	v_add_f32_dpp v28, v28, v28 row_shr:1 row_mask:0xf bank_mask:0xf bound_ctrl:1
	s_delay_alu instid0(VALU_DEP_1) | instskip(NEXT) | instid1(VALU_DEP_1)
.Ltmp165:
	.loc	2 293 36                        ; standard.py:293:36 @[ attention_bwd.py:19:19 ]
	v_permlanex16_b32 v31, v28, -1, -1 op_sel:[1,0]
.Ltmp166:
	.loc	2 263 15                        ; standard.py:263:15 @[ standard.py:293:36 @[ attention_bwd.py:19:19 ] ]
	v_add_f32_e32 v28, v28, v31
	s_delay_alu instid0(VALU_DEP_1) | instskip(SKIP_1) | instid1(VALU_DEP_1)
.Ltmp167:
	.loc	2 293 36                        ; standard.py:293:36 @[ attention_bwd.py:19:19 ]
	v_readlane_b32 s22, v28, 31
	v_permlanex16_b32 v28, v57, -1, -1 op_sel:[1,0]
.Ltmp168:
	.loc	2 263 15                        ; standard.py:263:15 @[ standard.py:293:36 @[ attention_bwd.py:19:19 ] ]
	v_add_f32_e32 v28, v57, v28
	v_fmac_f32_e32 v44, v29, v94
.Ltmp169:
	.loc	2 293 36                        ; standard.py:293:36 @[ attention_bwd.py:19:19 ]
	v_permlanex16_b32 v29, v47, -1, -1 op_sel:[1,0]
.Ltmp170:
	.loc	1 18 97                         ; attention_bwd.py:18:97
	v_lshlrev_b32_e32 v108, 16, v19
.Ltmp171:
	.loc	2 263 15                        ; standard.py:263:15 @[ standard.py:293:36 @[ attention_bwd.py:19:19 ] ]
	v_add_f32_dpp v57, v65, v65 row_shr:2 row_mask:0xf bank_mask:0xf bound_ctrl:1
.Ltmp172:
	.loc	2 293 36                        ; standard.py:293:36 @[ attention_bwd.py:19:19 ]
	v_readlane_b32 s24, v28, 31
.Ltmp173:
	.loc	1 19 23                         ; attention_bwd.py:19:23
	v_dual_mul_f32 v77, v22, v13 :: v_dual_lshlrev_b32 v58, 16, v83
.Ltmp174:
	.loc	2 263 15                        ; standard.py:263:15 @[ standard.py:293:36 @[ attention_bwd.py:19:19 ] ]
	v_add_f32_e32 v29, v47, v29
	s_delay_alu instid0(VALU_DEP_4) | instskip(SKIP_2) | instid1(VALU_DEP_4)
	v_add_f32_dpp v57, v57, v57 row_shr:1 row_mask:0xf bank_mask:0xf bound_ctrl:1
	v_add_f32_dpp v44, v44, v44 row_shr:4 row_mask:0xf bank_mask:0xf bound_ctrl:1
.Ltmp175:
	.loc	1 19 23                         ; attention_bwd.py:19:23
	v_mul_f32_e32 v65, v51, v106
.Ltmp176:
	.loc	2 293 36                        ; standard.py:293:36 @[ attention_bwd.py:19:19 ]
	v_readlane_b32 s23, v29, 31
.Ltmp177:
	.loc	2 263 15                        ; standard.py:263:15 @[ standard.py:293:36 @[ attention_bwd.py:19:19 ] ]
	v_add_f32_dpp v29, v64, v64 row_shr:2 row_mask:0xf bank_mask:0xf bound_ctrl:1
	s_delay_alu instid0(VALU_DEP_1) | instskip(NEXT) | instid1(VALU_DEP_1)
	v_add_f32_dpp v29, v29, v29 row_shr:1 row_mask:0xf bank_mask:0xf bound_ctrl:1
.Ltmp178:
	.loc	2 293 36                        ; standard.py:293:36 @[ attention_bwd.py:19:19 ]
	v_permlanex16_b32 v28, v29, -1, -1 op_sel:[1,0]
	s_delay_alu instid0(VALU_DEP_1) | instskip(SKIP_1) | instid1(VALU_DEP_2)
.Ltmp179:
	.loc	2 263 15                        ; standard.py:263:15 @[ standard.py:293:36 @[ attention_bwd.py:19:19 ] ]
	v_add_f32_e32 v28, v29, v28
.Ltmp180:
	.loc	1 19 23                         ; attention_bwd.py:19:23
	v_mul_f32_e32 v48, v35, v97
.Ltmp181:
	.loc	2 293 36                        ; standard.py:293:36 @[ attention_bwd.py:19:19 ]
	v_readlane_b32 s25, v28, 31
	v_permlanex16_b32 v28, v67, -1, -1 op_sel:[1,0]
	s_delay_alu instid0(VALU_DEP_3) | instskip(NEXT) | instid1(VALU_DEP_2)
	v_mov_b32_dpp v48, v48 row_shr:8 row_mask:0xf bank_mask:0xf bound_ctrl:1
.Ltmp182:
	.loc	2 263 15                        ; standard.py:263:15 @[ standard.py:293:36 @[ attention_bwd.py:19:19 ] ]
	v_dual_add_f32 v28, v67, v28 :: v_dual_lshlrev_b32 v19, 16, v91
	v_add_f32_dpp v67, v68, v68 row_shr:2 row_mask:0xf bank_mask:0xf bound_ctrl:1
	s_delay_alu instid0(VALU_DEP_3) | instskip(SKIP_1) | instid1(VALU_DEP_4)
	v_dual_fmac_f32 v33, v37, v98 :: v_dual_fmac_f32 v48, v35, v97
.Ltmp183:
	.loc	1 19 23                         ; attention_bwd.py:19:23
	v_mul_f32_e32 v64, v50, v105
.Ltmp184:
	.loc	2 293 36                        ; standard.py:293:36 @[ attention_bwd.py:19:19 ]
	v_readlane_b32 s27, v28, 31
	s_delay_alu instid0(VALU_DEP_4) | instskip(NEXT) | instid1(VALU_DEP_4)
.Ltmp185:
	.loc	2 263 15                        ; standard.py:263:15 @[ standard.py:293:36 @[ attention_bwd.py:19:19 ] ]
	v_add_f32_dpp v67, v67, v67 row_shr:1 row_mask:0xf bank_mask:0xf bound_ctrl:1
	v_add_f32_dpp v33, v33, v33 row_shr:4 row_mask:0xf bank_mask:0xf bound_ctrl:1
	;; [unrolled: 1-line block ×3, first 2 shown]
	s_delay_alu instid0(VALU_DEP_3) | instskip(SKIP_1) | instid1(VALU_DEP_4)
.Ltmp186:
	.loc	2 293 36                        ; standard.py:293:36 @[ attention_bwd.py:19:19 ]
	v_permlanex16_b32 v34, v67, -1, -1 op_sel:[1,0]
.Ltmp187:
	.loc	1 19 23                         ; attention_bwd.py:19:23
	v_lshlrev_b32_e32 v43, 16, v43
.Ltmp188:
	.loc	2 263 15                        ; standard.py:263:15 @[ standard.py:293:36 @[ attention_bwd.py:19:19 ] ]
	v_add_f32_dpp v33, v33, v33 row_shr:2 row_mask:0xf bank_mask:0xf bound_ctrl:1
	s_delay_alu instid0(VALU_DEP_4) | instskip(NEXT) | instid1(VALU_DEP_4)
	v_add_f32_dpp v48, v48, v48 row_shr:2 row_mask:0xf bank_mask:0xf bound_ctrl:1
	v_dual_add_f32 v34, v67, v34 :: v_dual_mul_f32 v67, v61, v25
.Ltmp189:
	.loc	2 293 36                        ; standard.py:293:36 @[ attention_bwd.py:19:19 ]
	v_permlanex16_b32 v30, v57, -1, -1 op_sel:[1,0]
	s_delay_alu instid0(VALU_DEP_4) | instskip(NEXT) | instid1(VALU_DEP_3)
.Ltmp190:
	.loc	2 263 15                        ; standard.py:263:15 @[ standard.py:293:36 @[ attention_bwd.py:19:19 ] ]
	v_add_f32_dpp v33, v33, v33 row_shr:1 row_mask:0xf bank_mask:0xf bound_ctrl:1
.Ltmp191:
	.loc	2 293 36                        ; standard.py:293:36 @[ attention_bwd.py:19:19 ]
	v_readlane_b32 s29, v34, 31
	s_delay_alu instid0(VALU_DEP_3) | instskip(SKIP_1) | instid1(VALU_DEP_2)
.Ltmp192:
	.loc	2 263 15                        ; standard.py:263:15 @[ standard.py:293:36 @[ attention_bwd.py:19:19 ] ]
	v_add_f32_e32 v30, v57, v30
.Ltmp193:
	.loc	1 19 23                         ; attention_bwd.py:19:23
	v_mul_f32_e32 v52, v39, v100
.Ltmp194:
	.loc	2 293 36                        ; standard.py:293:36 @[ attention_bwd.py:19:19 ]
	v_readlane_b32 s26, v30, 31
.Ltmp195:
	.loc	2 263 15                        ; standard.py:263:15 @[ standard.py:293:36 @[ attention_bwd.py:19:19 ] ]
	v_add_f32_dpp v30, v66, v66 row_shr:2 row_mask:0xf bank_mask:0xf bound_ctrl:1
.Ltmp196:
	.loc	1 19 23                         ; attention_bwd.py:19:23
	v_mul_f32_e32 v66, v58, v110
.Ltmp197:
	.loc	2 263 15                        ; standard.py:263:15 @[ standard.py:293:36 @[ attention_bwd.py:19:19 ] ]
	v_fmac_f32_e32 v63, v41, v102
.Ltmp198:
	.loc	1 19 23                         ; attention_bwd.py:19:23
	v_lshlrev_b32_e32 v59, 16, v85
	v_lshlrev_b32_e32 v49, 16, v72
.Ltmp199:
	.loc	2 263 15                        ; standard.py:263:15 @[ standard.py:293:36 @[ attention_bwd.py:19:19 ] ]
	v_add_f32_dpp v30, v30, v30 row_shr:1 row_mask:0xf bank_mask:0xf bound_ctrl:1
.Ltmp200:
	.loc	2 293 36                        ; standard.py:293:36 @[ attention_bwd.py:19:19 ]
	v_mov_b32_dpp v52, v52 row_shr:8 row_mask:0xf bank_mask:0xf bound_ctrl:1
	s_delay_alu instid0(VALU_DEP_3) | instskip(NEXT) | instid1(VALU_DEP_3)
.Ltmp201:
	.loc	1 19 23                         ; attention_bwd.py:19:23
	v_dual_mul_f32 v68, v59, v111 :: v_dual_mul_f32 v47, v49, v104
.Ltmp202:
	.loc	2 293 36                        ; standard.py:293:36 @[ attention_bwd.py:19:19 ]
	v_permlanex16_b32 v28, v30, -1, -1 op_sel:[1,0]
.Ltmp203:
	.loc	1 19 23                         ; attention_bwd.py:19:23
	v_dual_mul_f32 v74, v43, v112 :: v_dual_lshlrev_b32 v53, 16, v75
.Ltmp204:
	.loc	2 263 15                        ; standard.py:263:15 @[ standard.py:293:36 @[ attention_bwd.py:19:19 ] ]
	v_add_f32_dpp v75, v80, v80 row_shr:4 row_mask:0xf bank_mask:0xf bound_ctrl:1
	v_fmac_f32_e32 v52, v39, v100
	s_delay_alu instid0(VALU_DEP_4)
	v_add_f32_e32 v28, v30, v28
	v_add_f32_dpp v39, v63, v63 row_shr:4 row_mask:0xf bank_mask:0xf bound_ctrl:1
.Ltmp205:
	.loc	1 19 23                         ; attention_bwd.py:19:23
	v_mul_f32_e32 v57, v55, v109
.Ltmp206:
	.loc	2 263 15                        ; standard.py:263:15 @[ standard.py:293:36 @[ attention_bwd.py:19:19 ] ]
	v_add_f32_dpp v34, v75, v75 row_shr:2 row_mask:0xf bank_mask:0xf bound_ctrl:1
.Ltmp207:
	.loc	1 19 23                         ; attention_bwd.py:19:23
	v_mul_f32_e32 v71, v53, v107
.Ltmp208:
	.loc	2 293 36                        ; standard.py:293:36 @[ attention_bwd.py:19:19 ]
	v_readlane_b32 s28, v28, 31
	v_permlanex16_b32 v28, v69, -1, -1 op_sel:[1,0]
.Ltmp209:
	.loc	2 263 15                        ; standard.py:263:15 @[ standard.py:293:36 @[ attention_bwd.py:19:19 ] ]
	v_add_f32_dpp v39, v39, v39 row_shr:2 row_mask:0xf bank_mask:0xf bound_ctrl:1
	v_add_f32_dpp v34, v34, v34 row_shr:1 row_mask:0xf bank_mask:0xf bound_ctrl:1
	s_delay_alu instid0(VALU_DEP_3) | instskip(SKIP_1) | instid1(VALU_DEP_4)
	v_add_f32_e32 v28, v69, v28
	v_add_f32_dpp v69, v70, v70 row_shr:2 row_mask:0xf bank_mask:0xf bound_ctrl:1
	v_add_f32_dpp v39, v39, v39 row_shr:1 row_mask:0xf bank_mask:0xf bound_ctrl:1
	s_delay_alu instid0(VALU_DEP_3) | instskip(NEXT) | instid1(VALU_DEP_3)
.Ltmp210:
	.loc	2 293 36                        ; standard.py:293:36 @[ attention_bwd.py:19:19 ]
	v_readlane_b32 s30, v28, 31
.Ltmp211:
	.loc	2 263 15                        ; standard.py:263:15 @[ standard.py:293:36 @[ attention_bwd.py:19:19 ] ]
	v_add_f32_dpp v69, v69, v69 row_shr:1 row_mask:0xf bank_mask:0xf bound_ctrl:1
.Ltmp212:
	.loc	2 293 36                        ; standard.py:293:36 @[ attention_bwd.py:19:19 ]
	v_permlanex16_b32 v28, v34, -1, -1 op_sel:[1,0]
	s_delay_alu instid0(VALU_DEP_4) | instskip(NEXT) | instid1(VALU_DEP_3)
	v_permlanex16_b32 v63, v39, -1, -1 op_sel:[1,0]
	v_permlanex16_b32 v35, v69, -1, -1 op_sel:[1,0]
	s_delay_alu instid0(VALU_DEP_2) | instskip(NEXT) | instid1(VALU_DEP_2)
.Ltmp213:
	.loc	2 263 15                        ; standard.py:263:15 @[ standard.py:293:36 @[ attention_bwd.py:19:19 ] ]
	v_dual_add_f32 v28, v34, v28 :: v_dual_add_f32 v39, v39, v63
	v_dual_add_f32 v35, v69, v35 :: v_dual_mul_f32 v56, v40, v101
	s_delay_alu instid0(VALU_DEP_2) | instskip(SKIP_1) | instid1(VALU_DEP_4)
.Ltmp214:
	.loc	2 293 36                        ; standard.py:293:36 @[ attention_bwd.py:19:19 ]
	v_readlane_b32 s31, v28, 31
	v_permlanex16_b32 v28, v36, -1, -1 op_sel:[1,0]
	v_readlane_b32 s39, v39, 31
	s_delay_alu instid0(VALU_DEP_4) | instskip(SKIP_3) | instid1(VALU_DEP_3)
	v_readlane_b32 s33, v35, 31
	v_mov_b32_dpp v56, v56 row_shr:8 row_mask:0xf bank_mask:0xf bound_ctrl:1
.Ltmp215:
	.loc	2 263 15                        ; standard.py:263:15 @[ standard.py:293:36 @[ attention_bwd.py:19:19 ] ]
	v_add_f32_dpp v35, v44, v44 row_shr:2 row_mask:0xf bank_mask:0xf bound_ctrl:1
	v_add_f32_dpp v44, v45, v45 row_shr:4 row_mask:0xf bank_mask:0xf bound_ctrl:1
	v_fmac_f32_e32 v56, v40, v101
.Ltmp216:
	.loc	2 293 36                        ; standard.py:293:36 @[ attention_bwd.py:19:19 ]
	v_permlanex16_b32 v40, v33, -1, -1 op_sel:[1,0]
.Ltmp217:
	.loc	1 19 23                         ; attention_bwd.py:19:23
	v_lshlrev_b32_e32 v72, 16, v87
.Ltmp218:
	.loc	2 263 15                        ; standard.py:263:15 @[ standard.py:293:36 @[ attention_bwd.py:19:19 ] ]
	v_add_f32_dpp v35, v35, v35 row_shr:1 row_mask:0xf bank_mask:0xf bound_ctrl:1
	v_add_f32_dpp v44, v44, v44 row_shr:2 row_mask:0xf bank_mask:0xf bound_ctrl:1
	s_delay_alu instid0(VALU_DEP_4) | instskip(NEXT) | instid1(VALU_DEP_4)
	v_add_f32_e32 v33, v33, v40
.Ltmp219:
	.loc	1 19 23                         ; attention_bwd.py:19:23
	v_dual_mul_f32 v70, v72, v27 :: v_dual_lshlrev_b32 v73, 16, v89
	s_delay_alu instid0(VALU_DEP_3) | instskip(NEXT) | instid1(VALU_DEP_3)
.Ltmp220:
	.loc	2 263 15                        ; standard.py:263:15 @[ standard.py:293:36 @[ attention_bwd.py:19:19 ] ]
	v_add_f32_dpp v44, v44, v44 row_shr:1 row_mask:0xf bank_mask:0xf bound_ctrl:1
.Ltmp221:
	.loc	2 293 36                        ; standard.py:293:36 @[ attention_bwd.py:19:19 ]
	v_readlane_b32 s42, v33, 31
	v_mov_b32_dpp v33, v64 row_shr:8 row_mask:0xf bank_mask:0xf bound_ctrl:1
	s_delay_alu instid0(VALU_DEP_1) | instskip(SKIP_1) | instid1(VALU_DEP_2)
.Ltmp222:
	.loc	1 19 23                         ; attention_bwd.py:19:23
	v_dual_mul_f32 v76, v73, v23 :: v_dual_fmac_f32 v33, v50, v105
	v_mul_f32_e32 v45, v20, v16
.Ltmp223:
	.loc	2 263 15                        ; standard.py:263:15 @[ standard.py:293:36 @[ attention_bwd.py:19:19 ] ]
	v_add_f32_dpp v33, v33, v33 row_shr:4 row_mask:0xf bank_mask:0xf bound_ctrl:1
	s_delay_alu instid0(VALU_DEP_1) | instskip(NEXT) | instid1(VALU_DEP_1)
	v_add_f32_dpp v33, v33, v33 row_shr:2 row_mask:0xf bank_mask:0xf bound_ctrl:1
	v_add_f32_dpp v33, v33, v33 row_shr:1 row_mask:0xf bank_mask:0xf bound_ctrl:1
	v_add_f32_e32 v28, v36, v28
	v_add_f32_dpp v36, v46, v46 row_shr:4 row_mask:0xf bank_mask:0xf bound_ctrl:1
	s_delay_alu instid0(VALU_DEP_2) | instskip(NEXT) | instid1(VALU_DEP_2)
.Ltmp224:
	.loc	2 293 36                        ; standard.py:293:36 @[ attention_bwd.py:19:19 ]
	v_readlane_b32 s34, v28, 31
.Ltmp225:
	.loc	2 263 15                        ; standard.py:263:15 @[ standard.py:293:36 @[ attention_bwd.py:19:19 ] ]
	v_add_f32_dpp v28, v36, v36 row_shr:2 row_mask:0xf bank_mask:0xf bound_ctrl:1
.Ltmp226:
	.loc	2 293 36                        ; standard.py:293:36 @[ attention_bwd.py:19:19 ]
	v_permlanex16_b32 v36, v35, -1, -1 op_sel:[1,0]
	s_delay_alu instid0(VALU_DEP_2) | instskip(NEXT) | instid1(VALU_DEP_2)
.Ltmp227:
	.loc	2 263 15                        ; standard.py:263:15 @[ standard.py:293:36 @[ attention_bwd.py:19:19 ] ]
	v_add_f32_dpp v28, v28, v28 row_shr:1 row_mask:0xf bank_mask:0xf bound_ctrl:1
	v_dual_add_f32 v35, v35, v36 :: v_dual_mul_f32 v32, v38, v99
.Ltmp228:
	.loc	1 19 23                         ; attention_bwd.py:19:23
	v_dual_mul_f32 v69, v19, v15 :: v_dual_lshlrev_b32 v24, 16, v24
	v_mul_f32_e32 v31, v42, v103
.Ltmp229:
	.loc	2 293 36                        ; standard.py:293:36 @[ attention_bwd.py:19:19 ]
	v_permlanex16_b32 v36, v44, -1, -1 op_sel:[1,0]
	s_delay_alu instid0(VALU_DEP_4) | instskip(SKIP_4) | instid1(VALU_DEP_2)
	v_readlane_b32 s35, v35, 31
	v_mov_b32_dpp v32, v32 row_shr:8 row_mask:0xf bank_mask:0xf bound_ctrl:1
.Ltmp230:
	.loc	1 19 23                         ; attention_bwd.py:19:23
	v_mul_f32_e32 v30, v60, v24
.Ltmp231:
	.loc	2 293 36                        ; standard.py:293:36 @[ attention_bwd.py:19:19 ]
	v_mov_b32_dpp v31, v31 row_shr:8 row_mask:0xf bank_mask:0xf bound_ctrl:1
	v_permlanex16_b32 v37, v28, -1, -1 op_sel:[1,0]
.Ltmp232:
	.loc	2 263 15                        ; standard.py:263:15 @[ standard.py:293:36 @[ attention_bwd.py:19:19 ] ]
	v_fmac_f32_e32 v31, v42, v103
	s_delay_alu instid0(VALU_DEP_1) | instskip(NEXT) | instid1(VALU_DEP_1)
	v_add_f32_dpp v31, v31, v31 row_shr:4 row_mask:0xf bank_mask:0xf bound_ctrl:1
	v_add_f32_dpp v31, v31, v31 row_shr:2 row_mask:0xf bank_mask:0xf bound_ctrl:1
	s_delay_alu instid0(VALU_DEP_1) | instskip(NEXT) | instid1(VALU_DEP_1)
	v_add_f32_dpp v31, v31, v31 row_shr:1 row_mask:0xf bank_mask:0xf bound_ctrl:1
.Ltmp233:
	.loc	2 293 36                        ; standard.py:293:36 @[ attention_bwd.py:19:19 ]
	v_permlanex16_b32 v39, v31, -1, -1 op_sel:[1,0]
	s_delay_alu instid0(VALU_DEP_1) | instskip(NEXT) | instid1(VALU_DEP_1)
.Ltmp234:
	.loc	2 263 15                        ; standard.py:263:15 @[ standard.py:293:36 @[ attention_bwd.py:19:19 ] ]
	v_dual_add_f32 v31, v31, v39 :: v_dual_lshlrev_b32 v12, 16, v92
.Ltmp235:
	.loc	2 293 36                        ; standard.py:293:36 @[ attention_bwd.py:19:19 ]
	v_readlane_b32 s48, v31, 31
	v_mov_b32_dpp v31, v57 row_shr:8 row_mask:0xf bank_mask:0xf bound_ctrl:1
.Ltmp236:
	.loc	2 263 15                        ; standard.py:263:15 @[ standard.py:293:36 @[ attention_bwd.py:19:19 ] ]
	v_add_f32_e32 v36, v44, v36
	v_add_f32_dpp v44, v48, v48 row_shr:1 row_mask:0xf bank_mask:0xf bound_ctrl:1
	s_delay_alu instid0(VALU_DEP_3) | instskip(NEXT) | instid1(VALU_DEP_3)
	v_fmac_f32_e32 v31, v55, v109
.Ltmp237:
	.loc	2 293 36                        ; standard.py:293:36 @[ attention_bwd.py:19:19 ]
	v_readlane_b32 s36, v36, 31
	s_delay_alu instid0(VALU_DEP_3) | instskip(NEXT) | instid1(VALU_DEP_3)
	v_permlanex16_b32 v35, v44, -1, -1 op_sel:[1,0]
.Ltmp238:
	.loc	2 263 15                        ; standard.py:263:15 @[ standard.py:293:36 @[ attention_bwd.py:19:19 ] ]
	v_add_f32_dpp v31, v31, v31 row_shr:4 row_mask:0xf bank_mask:0xf bound_ctrl:1
	s_delay_alu instid0(VALU_DEP_2) | instskip(SKIP_1) | instid1(VALU_DEP_3)
	v_add_f32_e32 v35, v44, v35
.Ltmp239:
	.loc	1 19 23                         ; attention_bwd.py:19:23
	v_mul_f32_e32 v29, v54, v108
.Ltmp240:
	.loc	2 263 15                        ; standard.py:263:15 @[ standard.py:293:36 @[ attention_bwd.py:19:19 ] ]
	v_add_f32_dpp v31, v31, v31 row_shr:2 row_mask:0xf bank_mask:0xf bound_ctrl:1
	s_delay_alu instid0(VALU_DEP_3) | instskip(SKIP_1) | instid1(VALU_DEP_4)
.Ltmp241:
	.loc	2 293 36                        ; standard.py:293:36 @[ attention_bwd.py:19:19 ]
	v_readlane_b32 s38, v35, 31
.Ltmp242:
	.loc	2 263 15                        ; standard.py:263:15 @[ standard.py:293:36 @[ attention_bwd.py:19:19 ] ]
	v_add_f32_dpp v35, v52, v52 row_shr:4 row_mask:0xf bank_mask:0xf bound_ctrl:1
.Ltmp243:
	.loc	2 293 36                        ; standard.py:293:36 @[ attention_bwd.py:19:19 ]
	v_mov_b32_dpp v29, v29 row_shr:8 row_mask:0xf bank_mask:0xf bound_ctrl:1
	s_delay_alu instid0(VALU_DEP_4) | instskip(SKIP_1) | instid1(VALU_DEP_4)
.Ltmp244:
	.loc	2 263 15                        ; standard.py:263:15 @[ standard.py:293:36 @[ attention_bwd.py:19:19 ] ]
	v_add_f32_dpp v31, v31, v31 row_shr:1 row_mask:0xf bank_mask:0xf bound_ctrl:1
	v_add_f32_e32 v28, v28, v37
	v_add_f32_dpp v35, v35, v35 row_shr:2 row_mask:0xf bank_mask:0xf bound_ctrl:1
	s_delay_alu instid0(VALU_DEP_4) | instskip(NEXT) | instid1(VALU_DEP_4)
	v_fmac_f32_e32 v29, v54, v108
.Ltmp245:
	.loc	2 293 36                        ; standard.py:293:36 @[ attention_bwd.py:19:19 ]
	v_permlanex16_b32 v39, v31, -1, -1 op_sel:[1,0]
	s_delay_alu instid0(VALU_DEP_4) | instskip(NEXT) | instid1(VALU_DEP_4)
	v_readlane_b32 s37, v28, 31
.Ltmp246:
	.loc	2 263 15                        ; standard.py:263:15 @[ standard.py:293:36 @[ attention_bwd.py:19:19 ] ]
	v_add_f32_dpp v35, v35, v35 row_shr:1 row_mask:0xf bank_mask:0xf bound_ctrl:1
	s_delay_alu instid0(VALU_DEP_4) | instskip(NEXT) | instid1(VALU_DEP_4)
	v_add_f32_dpp v29, v29, v29 row_shr:4 row_mask:0xf bank_mask:0xf bound_ctrl:1
	v_add_f32_e32 v31, v31, v39
	s_delay_alu instid0(VALU_DEP_3) | instskip(SKIP_1) | instid1(VALU_DEP_4)
.Ltmp247:
	.loc	2 293 36                        ; standard.py:293:36 @[ attention_bwd.py:19:19 ]
	v_permlanex16_b32 v52, v35, -1, -1 op_sel:[1,0]
.Ltmp248:
	.loc	1 19 23                         ; attention_bwd.py:19:23
	v_lshlrev_b32_e32 v18, 16, v90
.Ltmp249:
	.loc	2 263 15                        ; standard.py:263:15 @[ standard.py:293:36 @[ attention_bwd.py:19:19 ] ]
	v_add_f32_dpp v29, v29, v29 row_shr:2 row_mask:0xf bank_mask:0xf bound_ctrl:1
	s_delay_alu instid0(VALU_DEP_4) | instskip(NEXT) | instid1(VALU_DEP_3)
.Ltmp250:
	.loc	2 293 36                        ; standard.py:293:36 @[ attention_bwd.py:19:19 ]
	v_readlane_b32 s53, v31, 31
.Ltmp251:
	.loc	2 263 15                        ; standard.py:263:15 @[ standard.py:293:36 @[ attention_bwd.py:19:19 ] ]
	v_dual_add_f32 v35, v35, v52 :: v_dual_mul_f32 v34, v18, v14
	s_delay_alu instid0(VALU_DEP_3) | instskip(SKIP_2) | instid1(VALU_DEP_4)
	v_add_f32_dpp v29, v29, v29 row_shr:1 row_mask:0xf bank_mask:0xf bound_ctrl:1
.Ltmp252:
	.loc	1 19 23                         ; attention_bwd.py:19:23
	v_mul_f32_e32 v37, v9, v5
	v_mul_f32_e32 v75, v62, v26
.Ltmp253:
	.loc	2 293 36                        ; standard.py:293:36 @[ attention_bwd.py:19:19 ]
	v_readlane_b32 s40, v35, 31
	v_mov_b32_dpp v35, v65 row_shr:8 row_mask:0xf bank_mask:0xf bound_ctrl:1
	s_delay_alu instid0(VALU_DEP_3) | instskip(NEXT) | instid1(VALU_DEP_2)
	v_mov_b32_dpp v31, v75 row_shr:8 row_mask:0xf bank_mask:0xf bound_ctrl:1
.Ltmp254:
	.loc	2 263 15                        ; standard.py:263:15 @[ standard.py:293:36 @[ attention_bwd.py:19:19 ] ]
	v_fmac_f32_e32 v35, v51, v106
	s_delay_alu instid0(VALU_DEP_2) | instskip(NEXT) | instid1(VALU_DEP_2)
	v_fmac_f32_e32 v31, v62, v26
	v_add_f32_dpp v35, v35, v35 row_shr:4 row_mask:0xf bank_mask:0xf bound_ctrl:1
	s_delay_alu instid0(VALU_DEP_1) | instskip(NEXT) | instid1(VALU_DEP_1)
	v_add_f32_dpp v35, v35, v35 row_shr:2 row_mask:0xf bank_mask:0xf bound_ctrl:1
	v_add_f32_dpp v35, v35, v35 row_shr:1 row_mask:0xf bank_mask:0xf bound_ctrl:1
	s_delay_alu instid0(VALU_DEP_1) | instskip(NEXT) | instid1(VALU_DEP_1)
.Ltmp255:
	.loc	2 293 36                        ; standard.py:293:36 @[ attention_bwd.py:19:19 ]
	v_permlanex16_b32 v42, v35, -1, -1 op_sel:[1,0]
.Ltmp256:
	.loc	1 19 23                         ; attention_bwd.py:19:23
	v_dual_mul_f32 v46, v21, v17 :: v_dual_add_f32 v35, v35, v42
	s_delay_alu instid0(VALU_DEP_1) | instskip(SKIP_1) | instid1(VALU_DEP_1)
.Ltmp257:
	.loc	2 293 36                        ; standard.py:293:36 @[ attention_bwd.py:19:19 ]
	v_readlane_b32 s44, v35, 31
	v_mov_b32_dpp v35, v74 row_shr:8 row_mask:0xf bank_mask:0xf bound_ctrl:1
.Ltmp258:
	.loc	1 19 23                         ; attention_bwd.py:19:23
	v_dual_mul_f32 v36, v10, v6 :: v_dual_fmac_f32 v35, v43, v112
	s_delay_alu instid0(VALU_DEP_1) | instskip(NEXT) | instid1(VALU_DEP_1)
.Ltmp259:
	.loc	2 263 15                        ; standard.py:263:15 @[ standard.py:293:36 @[ attention_bwd.py:19:19 ] ]
	v_add_f32_dpp v35, v35, v35 row_shr:4 row_mask:0xf bank_mask:0xf bound_ctrl:1
	v_add_f32_dpp v35, v35, v35 row_shr:2 row_mask:0xf bank_mask:0xf bound_ctrl:1
	s_delay_alu instid0(VALU_DEP_1) | instskip(NEXT) | instid1(VALU_DEP_1)
	v_add_f32_dpp v35, v35, v35 row_shr:1 row_mask:0xf bank_mask:0xf bound_ctrl:1
.Ltmp260:
	.loc	2 293 36                        ; standard.py:293:36 @[ attention_bwd.py:19:19 ]
	v_permlanex16_b32 v42, v35, -1, -1 op_sel:[1,0]
.Ltmp261:
	.loc	2 263 15                        ; standard.py:263:15 @[ standard.py:293:36 @[ attention_bwd.py:19:19 ] ]
	v_fmac_f32_e32 v32, v38, v99
	v_add_f32_dpp v38, v56, v56 row_shr:4 row_mask:0xf bank_mask:0xf bound_ctrl:1
	s_delay_alu instid0(VALU_DEP_3) | instskip(NEXT) | instid1(VALU_DEP_3)
	v_add_f32_e32 v35, v35, v42
	v_add_f32_dpp v32, v32, v32 row_shr:4 row_mask:0xf bank_mask:0xf bound_ctrl:1
	s_delay_alu instid0(VALU_DEP_3) | instskip(NEXT) | instid1(VALU_DEP_3)
	v_add_f32_dpp v38, v38, v38 row_shr:2 row_mask:0xf bank_mask:0xf bound_ctrl:1
.Ltmp262:
	.loc	2 293 36                        ; standard.py:293:36 @[ attention_bwd.py:19:19 ]
	v_readlane_b32 s49, v35, 31
	s_delay_alu instid0(VALU_DEP_3) | instskip(NEXT) | instid1(VALU_DEP_3)
.Ltmp263:
	.loc	2 263 15                        ; standard.py:263:15 @[ standard.py:293:36 @[ attention_bwd.py:19:19 ] ]
	v_add_f32_dpp v32, v32, v32 row_shr:2 row_mask:0xf bank_mask:0xf bound_ctrl:1
	v_add_f32_dpp v38, v38, v38 row_shr:1 row_mask:0xf bank_mask:0xf bound_ctrl:1
	s_delay_alu instid0(VALU_DEP_2) | instskip(NEXT) | instid1(VALU_DEP_2)
	v_add_f32_dpp v32, v32, v32 row_shr:1 row_mask:0xf bank_mask:0xf bound_ctrl:1
.Ltmp264:
	.loc	2 293 36                        ; standard.py:293:36 @[ attention_bwd.py:19:19 ]
	v_permlanex16_b32 v56, v38, -1, -1 op_sel:[1,0]
	s_delay_alu instid0(VALU_DEP_2) | instskip(NEXT) | instid1(VALU_DEP_2)
	v_permlanex16_b32 v41, v32, -1, -1 op_sel:[1,0]
.Ltmp265:
	.loc	2 263 15                        ; standard.py:263:15 @[ standard.py:293:36 @[ attention_bwd.py:19:19 ] ]
	v_add_f32_e32 v38, v38, v56
	s_delay_alu instid0(VALU_DEP_2) | instskip(SKIP_1) | instid1(VALU_DEP_3)
	v_add_f32_e32 v32, v32, v41
.Ltmp266:
	.loc	2 293 36                        ; standard.py:293:36 @[ attention_bwd.py:19:19 ]
	v_permlanex16_b32 v41, v33, -1, -1 op_sel:[1,0]
	v_readlane_b32 s41, v38, 31
	v_mov_b32_dpp v38, v71 row_shr:8 row_mask:0xf bank_mask:0xf bound_ctrl:1
	s_delay_alu instid0(VALU_DEP_3) | instskip(NEXT) | instid1(VALU_DEP_2)
.Ltmp267:
	.loc	2 263 15                        ; standard.py:263:15 @[ standard.py:293:36 @[ attention_bwd.py:19:19 ] ]
	v_add_f32_e32 v33, v33, v41
	v_fmac_f32_e32 v38, v53, v107
	s_delay_alu instid0(VALU_DEP_2) | instskip(SKIP_2) | instid1(VALU_DEP_4)
.Ltmp268:
	.loc	2 293 36                        ; standard.py:293:36 @[ attention_bwd.py:19:19 ]
	v_readlane_b32 s47, v33, 31
	v_mov_b32_dpp v33, v68 row_shr:8 row_mask:0xf bank_mask:0xf bound_ctrl:1
.Ltmp269:
	.loc	1 19 23                         ; attention_bwd.py:19:23
	v_mul_f32_e32 v48, v8, v4
.Ltmp270:
	.loc	2 263 15                        ; standard.py:263:15 @[ standard.py:293:36 @[ attention_bwd.py:19:19 ] ]
	v_add_f32_dpp v38, v38, v38 row_shr:4 row_mask:0xf bank_mask:0xf bound_ctrl:1
	s_delay_alu instid0(VALU_DEP_3) | instskip(NEXT) | instid1(VALU_DEP_2)
	v_fmac_f32_e32 v33, v59, v111
	v_add_f32_dpp v38, v38, v38 row_shr:2 row_mask:0xf bank_mask:0xf bound_ctrl:1
	s_delay_alu instid0(VALU_DEP_2) | instskip(NEXT) | instid1(VALU_DEP_2)
	v_add_f32_dpp v33, v33, v33 row_shr:4 row_mask:0xf bank_mask:0xf bound_ctrl:1
	v_add_f32_dpp v38, v38, v38 row_shr:1 row_mask:0xf bank_mask:0xf bound_ctrl:1
	s_delay_alu instid0(VALU_DEP_2) | instskip(NEXT) | instid1(VALU_DEP_1)
	v_add_f32_dpp v33, v33, v33 row_shr:2 row_mask:0xf bank_mask:0xf bound_ctrl:1
	v_add_f32_dpp v33, v33, v33 row_shr:1 row_mask:0xf bank_mask:0xf bound_ctrl:1
	s_delay_alu instid0(VALU_DEP_1) | instskip(NEXT) | instid1(VALU_DEP_1)
.Ltmp271:
	.loc	2 293 36                        ; standard.py:293:36 @[ attention_bwd.py:19:19 ]
	v_permlanex16_b32 v41, v33, -1, -1 op_sel:[1,0]
.Ltmp272:
	.loc	1 19 23                         ; attention_bwd.py:19:23
	v_dual_mul_f32 v44, v12, v3 :: v_dual_add_f32 v33, v33, v41
	s_delay_alu instid0(VALU_DEP_1) | instskip(SKIP_1) | instid1(VALU_DEP_1)
.Ltmp273:
	.loc	2 293 36                        ; standard.py:293:36 @[ attention_bwd.py:19:19 ]
	v_readlane_b32 s51, v33, 31
	v_mov_b32_dpp v33, v76 row_shr:8 row_mask:0xf bank_mask:0xf bound_ctrl:1
.Ltmp274:
	.loc	2 263 15                        ; standard.py:263:15 @[ standard.py:293:36 @[ attention_bwd.py:19:19 ] ]
	v_fmac_f32_e32 v33, v73, v23
.Ltmp275:
	.loc	2 293 36                        ; standard.py:293:36 @[ attention_bwd.py:19:19 ]
	v_readlane_b32 s43, v32, 31
	v_mov_b32_dpp v32, v47 row_shr:8 row_mask:0xf bank_mask:0xf bound_ctrl:1
	v_permlanex16_b32 v47, v38, -1, -1 op_sel:[1,0]
	s_delay_alu instid0(VALU_DEP_2) | instskip(NEXT) | instid1(VALU_DEP_2)
.Ltmp276:
	.loc	2 263 15                        ; standard.py:263:15 @[ standard.py:293:36 @[ attention_bwd.py:19:19 ] ]
	v_fmac_f32_e32 v32, v49, v104
	v_add_f32_e32 v38, v38, v47
	s_delay_alu instid0(VALU_DEP_2) | instskip(NEXT) | instid1(VALU_DEP_2)
	v_add_f32_dpp v32, v32, v32 row_shr:4 row_mask:0xf bank_mask:0xf bound_ctrl:1
.Ltmp277:
	.loc	2 293 36                        ; standard.py:293:36 @[ attention_bwd.py:19:19 ]
	v_readlane_b32 s45, v38, 31
	v_permlanex16_b32 v38, v29, -1, -1 op_sel:[1,0]
.Ltmp278:
	.loc	1 19 23                         ; attention_bwd.py:19:23
	v_mul_f32_e32 v28, v11, v7
	s_delay_alu instid0(VALU_DEP_4) | instskip(NEXT) | instid1(VALU_DEP_3)
.Ltmp279:
	.loc	2 263 15                        ; standard.py:263:15 @[ standard.py:293:36 @[ attention_bwd.py:19:19 ] ]
	v_add_f32_dpp v32, v32, v32 row_shr:2 row_mask:0xf bank_mask:0xf bound_ctrl:1
	v_add_f32_e32 v29, v29, v38
	s_delay_alu instid0(VALU_DEP_2) | instskip(NEXT) | instid1(VALU_DEP_2)
	v_add_f32_dpp v32, v32, v32 row_shr:1 row_mask:0xf bank_mask:0xf bound_ctrl:1
.Ltmp280:
	.loc	2 293 36                        ; standard.py:293:36 @[ attention_bwd.py:19:19 ]
	v_readlane_b32 s52, v29, 31
	v_mov_b32_dpp v29, v30 row_shr:8 row_mask:0xf bank_mask:0xf bound_ctrl:1
	v_mov_b32_dpp v30, v67 row_shr:8 row_mask:0xf bank_mask:0xf bound_ctrl:1
	s_delay_alu instid0(VALU_DEP_4) | instskip(NEXT) | instid1(VALU_DEP_2)
	v_permlanex16_b32 v40, v32, -1, -1 op_sel:[1,0]
.Ltmp281:
	.loc	2 263 15                        ; standard.py:263:15 @[ standard.py:293:36 @[ attention_bwd.py:19:19 ] ]
	v_dual_fmac_f32 v29, v60, v24 :: v_dual_fmac_f32 v30, v61, v25
	v_add_f32_dpp v25, v31, v31 row_shr:4 row_mask:0xf bank_mask:0xf bound_ctrl:1
	s_delay_alu instid0(VALU_DEP_2) | instskip(NEXT) | instid1(VALU_DEP_3)
	v_add_f32_dpp v23, v29, v29 row_shr:4 row_mask:0xf bank_mask:0xf bound_ctrl:1
	v_add_f32_dpp v24, v30, v30 row_shr:4 row_mask:0xf bank_mask:0xf bound_ctrl:1
	s_delay_alu instid0(VALU_DEP_3) | instskip(NEXT) | instid1(VALU_DEP_3)
	v_add_f32_dpp v25, v25, v25 row_shr:2 row_mask:0xf bank_mask:0xf bound_ctrl:1
	v_add_f32_dpp v23, v23, v23 row_shr:2 row_mask:0xf bank_mask:0xf bound_ctrl:1
	s_delay_alu instid0(VALU_DEP_3) | instskip(NEXT) | instid1(VALU_DEP_3)
	;; [unrolled: 3-line block ×3, first 2 shown]
	v_add_f32_dpp v23, v23, v23 row_shr:1 row_mask:0xf bank_mask:0xf bound_ctrl:1
	v_add_f32_dpp v24, v24, v24 row_shr:1 row_mask:0xf bank_mask:0xf bound_ctrl:1
	s_delay_alu instid0(VALU_DEP_3) | instskip(SKIP_1) | instid1(VALU_DEP_4)
.Ltmp282:
	.loc	2 293 36                        ; standard.py:293:36 @[ attention_bwd.py:19:19 ]
	v_permlanex16_b32 v31, v25, -1, -1 op_sel:[1,0]
.Ltmp283:
	.loc	2 263 15                        ; standard.py:263:15 @[ standard.py:293:36 @[ attention_bwd.py:19:19 ] ]
	v_add_f32_e32 v32, v32, v40
.Ltmp284:
	.loc	2 293 36                        ; standard.py:293:36 @[ attention_bwd.py:19:19 ]
	v_permlanex16_b32 v29, v23, -1, -1 op_sel:[1,0]
	s_delay_alu instid0(VALU_DEP_4) | instskip(NEXT) | instid1(VALU_DEP_4)
	v_permlanex16_b32 v30, v24, -1, -1 op_sel:[1,0]
.Ltmp285:
	.loc	2 263 15                        ; standard.py:263:15 @[ standard.py:293:36 @[ attention_bwd.py:19:19 ] ]
	v_add_f32_e32 v25, v25, v31
	s_delay_alu instid0(VALU_DEP_4) | instskip(SKIP_1) | instid1(VALU_DEP_4)
.Ltmp286:
	.loc	2 293 36                        ; standard.py:293:36 @[ attention_bwd.py:19:19 ]
	v_readlane_b32 s46, v32, 31
	v_mov_b32_dpp v32, v66 row_shr:8 row_mask:0xf bank_mask:0xf bound_ctrl:1
.Ltmp287:
	.loc	2 263 15                        ; standard.py:263:15 @[ standard.py:293:36 @[ attention_bwd.py:19:19 ] ]
	v_dual_add_f32 v23, v23, v29 :: v_dual_add_f32 v24, v24, v30
	s_delay_alu instid0(VALU_DEP_4) | instskip(SKIP_1) | instid1(VALU_DEP_3)
.Ltmp288:
	.loc	2 293 36                        ; standard.py:293:36 @[ attention_bwd.py:19:19 ]
	v_readlane_b32 s57, v25, 31
	v_mov_b32_dpp v25, v45 row_shr:8 row_mask:0xf bank_mask:0xf bound_ctrl:1
	v_readlane_b32 s58, v23, 31
	s_delay_alu instid0(VALU_DEP_4) | instskip(SKIP_1) | instid1(VALU_DEP_4)
	v_readlane_b32 s56, v24, 31
	v_mov_b32_dpp v24, v69 row_shr:8 row_mask:0xf bank_mask:0xf bound_ctrl:1
.Ltmp289:
	.loc	2 263 15                        ; standard.py:263:15 @[ standard.py:293:36 @[ attention_bwd.py:19:19 ] ]
	v_fmac_f32_e32 v25, v20, v16
.Ltmp290:
	.loc	2 293 36                        ; standard.py:293:36 @[ attention_bwd.py:19:19 ]
	v_mov_b32_dpp v23, v34 row_shr:8 row_mask:0xf bank_mask:0xf bound_ctrl:1
	s_delay_alu instid0(VALU_DEP_3) | instskip(NEXT) | instid1(VALU_DEP_3)
.Ltmp291:
	.loc	2 263 15                        ; standard.py:263:15 @[ standard.py:293:36 @[ attention_bwd.py:19:19 ] ]
	v_fmac_f32_e32 v24, v19, v15
	v_add_f32_dpp v15, v25, v25 row_shr:4 row_mask:0xf bank_mask:0xf bound_ctrl:1
	s_delay_alu instid0(VALU_DEP_3) | instskip(NEXT) | instid1(VALU_DEP_2)
	v_fmac_f32_e32 v23, v18, v14
	v_add_f32_dpp v15, v15, v15 row_shr:2 row_mask:0xf bank_mask:0xf bound_ctrl:1
	s_delay_alu instid0(VALU_DEP_1) | instskip(NEXT) | instid1(VALU_DEP_1)
	v_add_f32_dpp v15, v15, v15 row_shr:1 row_mask:0xf bank_mask:0xf bound_ctrl:1
.Ltmp292:
	.loc	2 293 36                        ; standard.py:293:36 @[ attention_bwd.py:19:19 ]
	v_permlanex16_b32 v20, v15, -1, -1 op_sel:[1,0]
	s_delay_alu instid0(VALU_DEP_1) | instskip(NEXT) | instid1(VALU_DEP_1)
.Ltmp293:
	.loc	2 263 15                        ; standard.py:263:15 @[ standard.py:293:36 @[ attention_bwd.py:19:19 ] ]
	v_dual_fmac_f32 v32, v58, v110 :: v_dual_add_f32 v15, v15, v20
	v_add_f32_dpp v32, v32, v32 row_shr:4 row_mask:0xf bank_mask:0xf bound_ctrl:1
	s_delay_alu instid0(VALU_DEP_2) | instskip(NEXT) | instid1(VALU_DEP_2)
.Ltmp294:
	.loc	2 293 36                        ; standard.py:293:36 @[ attention_bwd.py:19:19 ]
	v_readlane_b32 s60, v15, 31
.Ltmp295:
	.loc	2 263 15                        ; standard.py:263:15 @[ standard.py:293:36 @[ attention_bwd.py:19:19 ] ]
	v_add_f32_dpp v32, v32, v32 row_shr:2 row_mask:0xf bank_mask:0xf bound_ctrl:1
.Ltmp296:
	.loc	2 293 36                        ; standard.py:293:36 @[ attention_bwd.py:19:19 ]
	v_mov_b32_dpp v15, v36 row_shr:8 row_mask:0xf bank_mask:0xf bound_ctrl:1
	s_delay_alu instid0(VALU_DEP_2) | instskip(NEXT) | instid1(VALU_DEP_2)
.Ltmp297:
	.loc	2 263 15                        ; standard.py:263:15 @[ standard.py:293:36 @[ attention_bwd.py:19:19 ] ]
	v_add_f32_dpp v32, v32, v32 row_shr:1 row_mask:0xf bank_mask:0xf bound_ctrl:1
	v_fmac_f32_e32 v15, v10, v6
	s_delay_alu instid0(VALU_DEP_2) | instskip(NEXT) | instid1(VALU_DEP_1)
.Ltmp298:
	.loc	2 293 36                        ; standard.py:293:36 @[ attention_bwd.py:19:19 ]
	v_permlanex16_b32 v40, v32, -1, -1 op_sel:[1,0]
.Ltmp299:
	.loc	2 263 15                        ; standard.py:263:15 @[ standard.py:293:36 @[ attention_bwd.py:19:19 ] ]
	v_add_f32_e32 v32, v32, v40
	s_delay_alu instid0(VALU_DEP_1) | instskip(SKIP_1) | instid1(VALU_DEP_1)
.Ltmp300:
	.loc	2 293 36                        ; standard.py:293:36 @[ attention_bwd.py:19:19 ]
	v_readlane_b32 s50, v32, 31
	v_mov_b32_dpp v32, v70 row_shr:8 row_mask:0xf bank_mask:0xf bound_ctrl:1
.Ltmp301:
	.loc	2 263 15                        ; standard.py:263:15 @[ standard.py:293:36 @[ attention_bwd.py:19:19 ] ]
	v_fmac_f32_e32 v32, v72, v27
	v_add_f32_dpp v27, v33, v33 row_shr:4 row_mask:0xf bank_mask:0xf bound_ctrl:1
	s_delay_alu instid0(VALU_DEP_1) | instskip(NEXT) | instid1(VALU_DEP_1)
	v_add_f32_dpp v27, v27, v27 row_shr:2 row_mask:0xf bank_mask:0xf bound_ctrl:1
	v_add_f32_dpp v27, v27, v27 row_shr:1 row_mask:0xf bank_mask:0xf bound_ctrl:1
	s_delay_alu instid0(VALU_DEP_1) | instskip(NEXT) | instid1(VALU_DEP_1)
.Ltmp302:
	.loc	2 293 36                        ; standard.py:293:36 @[ attention_bwd.py:19:19 ]
	v_permlanex16_b32 v33, v27, -1, -1 op_sel:[1,0]
.Ltmp303:
	.loc	2 263 15                        ; standard.py:263:15 @[ standard.py:293:36 @[ attention_bwd.py:19:19 ] ]
	v_add_f32_e32 v27, v27, v33
	s_delay_alu instid0(VALU_DEP_1) | instskip(SKIP_1) | instid1(VALU_DEP_1)
.Ltmp304:
	.loc	2 293 36                        ; standard.py:293:36 @[ attention_bwd.py:19:19 ]
	v_readlane_b32 s55, v27, 31
	v_mov_b32_dpp v27, v77 row_shr:8 row_mask:0xf bank_mask:0xf bound_ctrl:1
.Ltmp305:
	.loc	2 263 15                        ; standard.py:263:15 @[ standard.py:293:36 @[ attention_bwd.py:19:19 ] ]
	v_fmac_f32_e32 v27, v22, v13
	v_add_f32_dpp v26, v32, v32 row_shr:4 row_mask:0xf bank_mask:0xf bound_ctrl:1
	v_add_f32_dpp v13, v23, v23 row_shr:4 row_mask:0xf bank_mask:0xf bound_ctrl:1
	s_delay_alu instid0(VALU_DEP_2) | instskip(NEXT) | instid1(VALU_DEP_2)
	v_add_f32_dpp v26, v26, v26 row_shr:2 row_mask:0xf bank_mask:0xf bound_ctrl:1
	v_add_f32_dpp v13, v13, v13 row_shr:2 row_mask:0xf bank_mask:0xf bound_ctrl:1
	s_delay_alu instid0(VALU_DEP_2) | instskip(NEXT) | instid1(VALU_DEP_2)
	;; [unrolled: 3-line block ×3, first 2 shown]
.Ltmp306:
	.loc	2 293 36                        ; standard.py:293:36 @[ attention_bwd.py:19:19 ]
	v_permlanex16_b32 v32, v26, -1, -1 op_sel:[1,0]
	v_permlanex16_b32 v18, v13, -1, -1 op_sel:[1,0]
	s_delay_alu instid0(VALU_DEP_1) | instskip(NEXT) | instid1(VALU_DEP_1)
.Ltmp307:
	.loc	2 263 15                        ; standard.py:263:15 @[ standard.py:293:36 @[ attention_bwd.py:19:19 ] ]
	v_dual_add_f32 v26, v26, v32 :: v_dual_add_f32 v13, v13, v18
.Ltmp308:
	.loc	2 293 36                        ; standard.py:293:36 @[ attention_bwd.py:19:19 ]
	v_readlane_b32 s54, v26, 31
	v_mov_b32_dpp v26, v46 row_shr:8 row_mask:0xf bank_mask:0xf bound_ctrl:1
	s_delay_alu instid0(VALU_DEP_3) | instskip(SKIP_1) | instid1(VALU_DEP_3)
	v_readlane_b32 s62, v13, 31
	v_mov_b32_dpp v13, v48 row_shr:8 row_mask:0xf bank_mask:0xf bound_ctrl:1
.Ltmp309:
	.loc	2 263 15                        ; standard.py:263:15 @[ standard.py:293:36 @[ attention_bwd.py:19:19 ] ]
	v_fmac_f32_e32 v26, v21, v17
	v_add_f32_dpp v17, v27, v27 row_shr:4 row_mask:0xf bank_mask:0xf bound_ctrl:1
	s_delay_alu instid0(VALU_DEP_3) | instskip(NEXT) | instid1(VALU_DEP_3)
	v_fmac_f32_e32 v13, v8, v4
	v_add_f32_dpp v16, v26, v26 row_shr:4 row_mask:0xf bank_mask:0xf bound_ctrl:1
	s_delay_alu instid0(VALU_DEP_3) | instskip(NEXT) | instid1(VALU_DEP_2)
	v_add_f32_dpp v17, v17, v17 row_shr:2 row_mask:0xf bank_mask:0xf bound_ctrl:1
	v_add_f32_dpp v16, v16, v16 row_shr:2 row_mask:0xf bank_mask:0xf bound_ctrl:1
	s_delay_alu instid0(VALU_DEP_2) | instskip(NEXT) | instid1(VALU_DEP_2)
	v_add_f32_dpp v17, v17, v17 row_shr:1 row_mask:0xf bank_mask:0xf bound_ctrl:1
	v_add_f32_dpp v16, v16, v16 row_shr:1 row_mask:0xf bank_mask:0xf bound_ctrl:1
	s_delay_alu instid0(VALU_DEP_2) | instskip(NEXT) | instid1(VALU_DEP_2)
.Ltmp310:
	.loc	2 293 36                        ; standard.py:293:36 @[ attention_bwd.py:19:19 ]
	v_permlanex16_b32 v22, v17, -1, -1 op_sel:[1,0]
	v_permlanex16_b32 v21, v16, -1, -1 op_sel:[1,0]
	s_delay_alu instid0(VALU_DEP_2) | instskip(SKIP_1) | instid1(VALU_DEP_3)
.Ltmp311:
	.loc	2 263 15                        ; standard.py:263:15 @[ standard.py:293:36 @[ attention_bwd.py:19:19 ] ]
	v_add_f32_e32 v17, v17, v22
	v_add_f32_dpp v14, v24, v24 row_shr:4 row_mask:0xf bank_mask:0xf bound_ctrl:1
	v_add_f32_e32 v16, v16, v21
	s_delay_alu instid0(VALU_DEP_3) | instskip(NEXT) | instid1(VALU_DEP_3)
.Ltmp312:
	.loc	2 293 36                        ; standard.py:293:36 @[ attention_bwd.py:19:19 ]
	v_readlane_b32 s59, v17, 31
.Ltmp313:
	.loc	2 263 15                        ; standard.py:263:15 @[ standard.py:293:36 @[ attention_bwd.py:19:19 ] ]
	v_add_f32_dpp v14, v14, v14 row_shr:2 row_mask:0xf bank_mask:0xf bound_ctrl:1
.Ltmp314:
	.loc	2 293 36                        ; standard.py:293:36 @[ attention_bwd.py:19:19 ]
	v_mov_b32_dpp v17, v44 row_shr:8 row_mask:0xf bank_mask:0xf bound_ctrl:1
	s_delay_alu instid0(VALU_DEP_4) | instskip(SKIP_1) | instid1(VALU_DEP_4)
	v_readlane_b32 s61, v16, 31
	v_mov_b32_dpp v16, v28 row_shr:8 row_mask:0xf bank_mask:0xf bound_ctrl:1
.Ltmp315:
	.loc	2 263 15                        ; standard.py:263:15 @[ standard.py:293:36 @[ attention_bwd.py:19:19 ] ]
	v_add_f32_dpp v14, v14, v14 row_shr:1 row_mask:0xf bank_mask:0xf bound_ctrl:1
	s_delay_alu instid0(VALU_DEP_4) | instskip(SKIP_1) | instid1(VALU_DEP_4)
	v_fmac_f32_e32 v17, v12, v3
	v_add_f32_dpp v3, v13, v13 row_shr:4 row_mask:0xf bank_mask:0xf bound_ctrl:1
	v_fmac_f32_e32 v16, v11, v7
	s_delay_alu instid0(VALU_DEP_4) | instskip(NEXT) | instid1(VALU_DEP_4)
.Ltmp316:
	.loc	2 293 36                        ; standard.py:293:36 @[ attention_bwd.py:19:19 ]
	v_permlanex16_b32 v19, v14, -1, -1 op_sel:[1,0]
.Ltmp317:
	.loc	2 263 15                        ; standard.py:263:15 @[ standard.py:293:36 @[ attention_bwd.py:19:19 ] ]
	v_add_f32_dpp v7, v17, v17 row_shr:4 row_mask:0xf bank_mask:0xf bound_ctrl:1
	s_delay_alu instid0(VALU_DEP_4) | instskip(NEXT) | instid1(VALU_DEP_4)
	v_add_f32_dpp v3, v3, v3 row_shr:2 row_mask:0xf bank_mask:0xf bound_ctrl:1
	v_add_f32_dpp v6, v16, v16 row_shr:4 row_mask:0xf bank_mask:0xf bound_ctrl:1
	s_delay_alu instid0(VALU_DEP_4) | instskip(NEXT) | instid1(VALU_DEP_4)
	v_add_f32_e32 v14, v14, v19
	v_add_f32_dpp v7, v7, v7 row_shr:2 row_mask:0xf bank_mask:0xf bound_ctrl:1
	s_delay_alu instid0(VALU_DEP_4) | instskip(NEXT) | instid1(VALU_DEP_4)
	v_add_f32_dpp v3, v3, v3 row_shr:1 row_mask:0xf bank_mask:0xf bound_ctrl:1
	v_add_f32_dpp v6, v6, v6 row_shr:2 row_mask:0xf bank_mask:0xf bound_ctrl:1
	s_delay_alu instid0(VALU_DEP_4) | instskip(SKIP_4) | instid1(VALU_DEP_4)
.Ltmp318:
	.loc	2 293 36                        ; standard.py:293:36 @[ attention_bwd.py:19:19 ]
	v_readlane_b32 s63, v14, 31
	v_mov_b32_dpp v14, v37 row_shr:8 row_mask:0xf bank_mask:0xf bound_ctrl:1
.Ltmp319:
	.loc	2 263 15                        ; standard.py:263:15 @[ standard.py:293:36 @[ attention_bwd.py:19:19 ] ]
	v_add_f32_dpp v7, v7, v7 row_shr:1 row_mask:0xf bank_mask:0xf bound_ctrl:1
.Ltmp320:
	.loc	2 293 36                        ; standard.py:293:36 @[ attention_bwd.py:19:19 ]
	v_permlanex16_b32 v8, v3, -1, -1 op_sel:[1,0]
.Ltmp321:
	.loc	2 263 15                        ; standard.py:263:15 @[ standard.py:293:36 @[ attention_bwd.py:19:19 ] ]
	v_add_f32_dpp v6, v6, v6 row_shr:1 row_mask:0xf bank_mask:0xf bound_ctrl:1
	v_fmac_f32_e32 v14, v9, v5
	v_add_f32_dpp v5, v15, v15 row_shr:4 row_mask:0xf bank_mask:0xf bound_ctrl:1
.Ltmp322:
	.loc	2 293 36                        ; standard.py:293:36 @[ attention_bwd.py:19:19 ]
	v_permlanex16_b32 v12, v7, -1, -1 op_sel:[1,0]
	s_delay_alu instid0(VALU_DEP_4) | instskip(SKIP_3) | instid1(VALU_DEP_4)
	v_permlanex16_b32 v11, v6, -1, -1 op_sel:[1,0]
.Ltmp323:
	.loc	2 263 15                        ; standard.py:263:15 @[ standard.py:293:36 @[ attention_bwd.py:19:19 ] ]
	v_add_f32_e32 v3, v3, v8
	v_add_f32_dpp v4, v14, v14 row_shr:4 row_mask:0xf bank_mask:0xf bound_ctrl:1
	v_add_f32_dpp v5, v5, v5 row_shr:2 row_mask:0xf bank_mask:0xf bound_ctrl:1
	v_dual_add_f32 v7, v7, v12 :: v_dual_add_f32 v6, v6, v11
	s_delay_alu instid0(VALU_DEP_4) | instskip(NEXT) | instid1(VALU_DEP_4)
.Ltmp324:
	.loc	2 293 36                        ; standard.py:293:36 @[ attention_bwd.py:19:19 ]
	v_readlane_b32 s69, v3, 31
.Ltmp325:
	.loc	2 263 15                        ; standard.py:263:15 @[ standard.py:293:36 @[ attention_bwd.py:19:19 ] ]
	v_add_f32_dpp v4, v4, v4 row_shr:2 row_mask:0xf bank_mask:0xf bound_ctrl:1
	s_delay_alu instid0(VALU_DEP_4) | instskip(NEXT) | instid1(VALU_DEP_4)
	v_add_f32_dpp v5, v5, v5 row_shr:1 row_mask:0xf bank_mask:0xf bound_ctrl:1
.Ltmp326:
	.loc	2 293 36                        ; standard.py:293:36 @[ attention_bwd.py:19:19 ]
	v_readlane_b32 s66, v7, 31
	v_readlane_b32 s65, v6, 31
	s_delay_alu instid0(VALU_DEP_4) | instskip(NEXT) | instid1(VALU_DEP_4)
.Ltmp327:
	.loc	2 263 15                        ; standard.py:263:15 @[ standard.py:293:36 @[ attention_bwd.py:19:19 ] ]
	v_add_f32_dpp v4, v4, v4 row_shr:1 row_mask:0xf bank_mask:0xf bound_ctrl:1
.Ltmp328:
	.loc	2 293 36                        ; standard.py:293:36 @[ attention_bwd.py:19:19 ]
	v_permlanex16_b32 v10, v5, -1, -1 op_sel:[1,0]
	s_delay_alu instid0(VALU_DEP_2) | instskip(NEXT) | instid1(VALU_DEP_1)
	v_permlanex16_b32 v9, v4, -1, -1 op_sel:[1,0]
.Ltmp329:
	.loc	2 263 15                        ; standard.py:263:15 @[ standard.py:293:36 @[ attention_bwd.py:19:19 ] ]
	v_dual_add_f32 v5, v5, v10 :: v_dual_add_f32 v4, v4, v9
	s_delay_alu instid0(VALU_DEP_1) | instskip(NEXT) | instid1(VALU_DEP_2)
.Ltmp330:
	.loc	2 293 36                        ; standard.py:293:36 @[ attention_bwd.py:19:19 ]
	v_readlane_b32 s68, v5, 31
	v_readlane_b32 s67, v4, 31
	v_cmpx_eq_u32_e32 0, v2
	s_cbranch_execz .LBB0_2
; %bb.1:                                ; %.critedge
	s_and_b32 s70, s3, 3
	v_dual_mov_b32 v2, s8 :: v_dual_mov_b32 v3, s7
	s_lshl2_add_u32 s8, s70, 0
	s_wait_alu depctr_sa_sdst(0)
	v_dual_mov_b32 v5, s6 :: v_dual_mov_b32 v4, s8
	v_dual_mov_b32 v6, s13 :: v_dual_mov_b32 v7, s10
	;; [unrolled: 1-line block ×3, first 2 shown]
	ds_store_2addr_b32 v4, v2, v3 offset1:4
	ds_store_2addr_b32 v4, v5, v6 offset0:8 offset1:12
	v_dual_mov_b32 v2, s9 :: v_dual_mov_b32 v3, s11
	v_dual_mov_b32 v5, s12 :: v_dual_mov_b32 v6, s14
	;; [unrolled: 1-line block ×3, first 2 shown]
	v_mov_b32_e32 v12, s17
	ds_store_2addr_b32 v4, v7, v2 offset0:16 offset1:20
	ds_store_2addr_b32 v4, v3, v5 offset0:24 offset1:28
	ds_store_2addr_b32 v4, v6, v8 offset0:32 offset1:36
	ds_store_2addr_b32 v4, v9, v10 offset0:40 offset1:44
	ds_store_2addr_b32 v4, v11, v12 offset0:48 offset1:52
	v_dual_mov_b32 v2, s18 :: v_dual_mov_b32 v5, s20
	v_dual_mov_b32 v3, s19 :: v_dual_mov_b32 v6, s21
	v_dual_mov_b32 v7, s22 :: v_dual_mov_b32 v8, s23
	v_dual_mov_b32 v9, s24 :: v_dual_mov_b32 v10, s25
	v_dual_mov_b32 v11, s26 :: v_dual_mov_b32 v12, s27
	ds_store_2addr_b32 v4, v2, v3 offset0:56 offset1:60
	ds_store_2addr_b32 v4, v5, v6 offset0:64 offset1:68
	ds_store_2addr_b32 v4, v7, v8 offset0:72 offset1:76
	ds_store_2addr_b32 v4, v9, v10 offset0:80 offset1:84
	ds_store_2addr_b32 v4, v11, v12 offset0:88 offset1:92
	v_dual_mov_b32 v2, s28 :: v_dual_mov_b32 v5, s30
	v_dual_mov_b32 v3, s29 :: v_dual_mov_b32 v6, s31
	v_dual_mov_b32 v7, s33 :: v_dual_mov_b32 v8, s34
	v_dual_mov_b32 v9, s35 :: v_dual_mov_b32 v10, s36
	v_dual_mov_b32 v11, s37 :: v_dual_mov_b32 v12, s38
	;; [unrolled: 10-line block ×5, first 2 shown]
	ds_store_2addr_b32 v4, v2, v3 offset0:216 offset1:220
	ds_store_2addr_b32 v4, v5, v6 offset0:224 offset1:228
	;; [unrolled: 1-line block ×5, first 2 shown]
.LBB0_2:                                ; %.critedge124
	.loc	2 0 36 is_stmt 0                ; standard.py:0:36
	s_or_b32 exec_lo, exec_lo, s64
	.loc	2 293 36                        ; standard.py:293:36 @[ attention_bwd.py:19:19 ]
	s_wait_dscnt 0x0
	s_barrier_signal -1
	v_lshl_add_u32 v2, v0, 2, 0
	v_and_b32_e32 v0, 3, v0
	s_delay_alu instid0(VALU_DEP_1)
	v_cmp_eq_u32_e32 vcc_lo, 0, v0
	s_barrier_wait -1
	global_inv scope:SCOPE_SE
	ds_load_b32 v3, v2
	s_wait_dscnt 0x0
	v_mov_b32_e32 v4, v3
	s_delay_alu instid0(VALU_DEP_1) | instskip(NEXT) | instid1(VALU_DEP_1)
	v_mov_b32_dpp v4, v4 quad_perm:[2,3,0,1] row_mask:0xf bank_mask:0xf
.Ltmp331:
	.loc	2 263 15 is_stmt 1              ; standard.py:263:15 @[ standard.py:293:36 @[ attention_bwd.py:19:19 ] ]
	v_add_f32_e32 v3, v3, v4
	s_delay_alu instid0(VALU_DEP_1) | instskip(NEXT) | instid1(VALU_DEP_1)
.Ltmp332:
	.loc	2 293 36                        ; standard.py:293:36 @[ attention_bwd.py:19:19 ]
	v_mov_b32_e32 v4, v3
	v_mov_b32_dpp v4, v4 quad_perm:[1,0,3,2] row_mask:0xf bank_mask:0xf
	s_and_saveexec_b32 s4, vcc_lo
; %bb.3:
	.loc	2 0 36 is_stmt 0                ; standard.py:0:36
	s_delay_alu instid0(VALU_DEP_1)
	v_add_f32_e32 v0, v3, v4
	.loc	2 293 36                        ; standard.py:293:36 @[ attention_bwd.py:19:19 ]
	ds_store_b32 v2, v0
; %bb.4:
	.loc	2 0 36                          ; standard.py:0:36
	s_wait_alu depctr_sa_sdst(0)
	s_or_b32 exec_lo, exec_lo, s4
	.loc	2 293 36                        ; standard.py:293:36 @[ attention_bwd.py:19:19 ]
	ds_load_b32 v0, v2 offset:512
	s_wait_dscnt 0x0
	v_mov_b32_e32 v3, v0
	s_delay_alu instid0(VALU_DEP_1) | instskip(NEXT) | instid1(VALU_DEP_1)
	v_mov_b32_dpp v3, v3 quad_perm:[2,3,0,1] row_mask:0xf bank_mask:0xf
.Ltmp333:
	.loc	2 263 15 is_stmt 1              ; standard.py:263:15 @[ standard.py:293:36 @[ attention_bwd.py:19:19 ] ]
	v_add_f32_e32 v0, v0, v3
	s_delay_alu instid0(VALU_DEP_1) | instskip(NEXT) | instid1(VALU_DEP_1)
.Ltmp334:
	.loc	2 293 36                        ; standard.py:293:36 @[ attention_bwd.py:19:19 ]
	v_mov_b32_e32 v3, v0
	v_mov_b32_dpp v3, v3 quad_perm:[1,0,3,2] row_mask:0xf bank_mask:0xf
	s_and_saveexec_b32 s4, vcc_lo
; %bb.5:
	.loc	2 0 36 is_stmt 0                ; standard.py:0:36
	s_delay_alu instid0(VALU_DEP_1)
	v_add_f32_e32 v0, v0, v3
	.loc	2 293 36                        ; standard.py:293:36 @[ attention_bwd.py:19:19 ]
	ds_store_b32 v2, v0 offset:512
; %bb.6:
	.loc	2 0 36                          ; standard.py:0:36
	s_wait_alu depctr_sa_sdst(0)
	s_or_b32 exec_lo, exec_lo, s4
	.loc	2 293 36                        ; standard.py:293:36 @[ attention_bwd.py:19:19 ]
	s_wait_loadcnt_dscnt 0x0
	s_barrier_signal -1
	v_mov_b32_e32 v0, 0
.Ltmp335:
	.loc	1 21 45 is_stmt 1               ; attention_bwd.py:21:45
	s_bitcmp1_b32 s3, 1
.Ltmp336:
	.loc	2 293 36                        ; standard.py:293:36 @[ attention_bwd.py:19:19 ]
	s_barrier_wait -1
	global_inv scope:SCOPE_SE
	ds_load_b32 v2, v0
	ds_load_b32 v3, v0 offset:16
	ds_load_b32 v4, v0 offset:32
	;; [unrolled: 1-line block ×63, first 2 shown]
.Ltmp337:
	.loc	1 21 45                         ; attention_bwd.py:21:45
	s_wait_loadcnt_dscnt 0x0
	s_barrier_signal -1
	s_barrier_wait -1
	global_inv scope:SCOPE_SE
	ds_store_b128 v0, v[2:5]
	ds_store_b128 v0, v[6:9] offset:16
	ds_store_b128 v0, v[10:13] offset:32
	;; [unrolled: 1-line block ×15, first 2 shown]
	s_wait_loadcnt_dscnt 0x0
	s_barrier_signal -1
	s_barrier_wait -1
	global_inv scope:SCOPE_SE
	s_cbranch_scc1 .LBB0_8
; %bb.7:
	.loc	1 13 54                         ; attention_bwd.py:13:54
	v_and_b32_e32 v0, 63, v1
	s_load_b64 s[0:1], s[0:1], 0x10
	.loc	1 21 21                         ; attention_bwd.py:21:21
	s_ashr_i32 s3, s2, 31
	s_wait_alu depctr_sa_sdst(0)
	s_lshl_b64 s[2:3], s[2:3], 2
	.loc	1 21 45 is_stmt 0               ; attention_bwd.py:21:45
	v_lshl_add_u32 v1, v0, 2, 0
	.loc	1 13 41 is_stmt 1               ; attention_bwd.py:13:41
	v_lshl_or_b32 v0, ttmp9, 6, v0
	.loc	1 21 45                         ; attention_bwd.py:21:45
	ds_load_b32 v2, v1
	.loc	1 21 38 is_stmt 0               ; attention_bwd.py:21:38
	v_ashrrev_i32_e32 v1, 31, v0
	s_delay_alu instid0(VALU_DEP_1) | instskip(SKIP_4) | instid1(VALU_DEP_1)
	v_lshlrev_b64_e32 v[0:1], 2, v[0:1]
	.loc	1 21 21                         ; attention_bwd.py:21:21
	s_wait_kmcnt 0x0
	s_wait_alu depctr_sa_sdst(0)
	s_add_nc_u64 s[0:1], s[0:1], s[2:3]
	.loc	1 21 38                         ; attention_bwd.py:21:38
	s_wait_alu depctr_sa_sdst(0)
	v_add_co_u32 v0, vcc_lo, s0, v0
	s_delay_alu instid0(VALU_DEP_1)
	v_add_co_ci_u32_e64 v1, null, s1, v1, vcc_lo
	.loc	1 21 45                         ; attention_bwd.py:21:45
	s_wait_dscnt 0x0
	global_store_b32 v[0:1], v2, off
.LBB0_8:
	.loc	1 21 4                          ; attention_bwd.py:21:4
	s_nop 0
	s_sendmsg sendmsg(MSG_DEALLOC_VGPRS)
	s_endpgm
.Ltmp338:
	.section	.rodata,"a",@progbits
	.p2align	6, 0x0
	.amdhsa_kernel _attn_bwd_preprocess
		.amdhsa_group_segment_fixed_size 0
		.amdhsa_private_segment_fixed_size 0
		.amdhsa_kernarg_size 56
		.amdhsa_user_sgpr_count 2
		.amdhsa_user_sgpr_dispatch_ptr 0
		.amdhsa_user_sgpr_queue_ptr 0
		.amdhsa_user_sgpr_kernarg_segment_ptr 1
		.amdhsa_user_sgpr_dispatch_id 0
		.amdhsa_user_sgpr_private_segment_size 0
		.amdhsa_wavefront_size32 1
		.amdhsa_uses_dynamic_stack 0
		.amdhsa_enable_private_segment 0
		.amdhsa_system_sgpr_workgroup_id_x 1
		.amdhsa_system_sgpr_workgroup_id_y 1
		.amdhsa_system_sgpr_workgroup_id_z 1
		.amdhsa_system_sgpr_workgroup_info 0
		.amdhsa_system_vgpr_workitem_id 0
		.amdhsa_next_free_vgpr 113
		.amdhsa_next_free_sgpr 71
		.amdhsa_reserve_vcc 1
		.amdhsa_float_round_mode_32 0
		.amdhsa_float_round_mode_16_64 0
		.amdhsa_float_denorm_mode_32 3
		.amdhsa_float_denorm_mode_16_64 3
		.amdhsa_fp16_overflow 0
		.amdhsa_workgroup_processor_mode 1
		.amdhsa_memory_ordered 1
		.amdhsa_forward_progress 1
		.amdhsa_inst_pref_size 65
		.amdhsa_round_robin_scheduling 0
		.amdhsa_exception_fp_ieee_invalid_op 0
		.amdhsa_exception_fp_denorm_src 0
		.amdhsa_exception_fp_ieee_div_zero 0
		.amdhsa_exception_fp_ieee_overflow 0
		.amdhsa_exception_fp_ieee_underflow 0
		.amdhsa_exception_fp_ieee_inexact 0
		.amdhsa_exception_int_div_zero 0
	.end_amdhsa_kernel
	.text
.Lfunc_end0:
	.size	_attn_bwd_preprocess, .Lfunc_end0-_attn_bwd_preprocess
	.cfi_endproc
                                        ; -- End function
	.set _attn_bwd_preprocess.num_vgpr, 113
	.set _attn_bwd_preprocess.num_agpr, 0
	.set _attn_bwd_preprocess.numbered_sgpr, 71
	.set _attn_bwd_preprocess.num_named_barrier, 0
	.set _attn_bwd_preprocess.private_seg_size, 0
	.set _attn_bwd_preprocess.uses_vcc, 1
	.set _attn_bwd_preprocess.uses_flat_scratch, 0
	.set _attn_bwd_preprocess.has_dyn_sized_stack, 0
	.set _attn_bwd_preprocess.has_recursion, 0
	.set _attn_bwd_preprocess.has_indirect_call, 0
	.section	.AMDGPU.csdata,"",@progbits
; Kernel info:
; codeLenInByte = 8264
; TotalNumSgprs: 73
; NumVgprs: 113
; ScratchSize: 0
; MemoryBound: 0
; FloatMode: 240
; IeeeMode: 1
; LDSByteSize: 0 bytes/workgroup (compile time only)
; SGPRBlocks: 0
; VGPRBlocks: 14
; NumSGPRsForWavesPerEU: 73
; NumVGPRsForWavesPerEU: 113
; Occupancy: 12
; WaveLimiterHint : 1
; COMPUTE_PGM_RSRC2:SCRATCH_EN: 0
; COMPUTE_PGM_RSRC2:USER_SGPR: 2
; COMPUTE_PGM_RSRC2:TRAP_HANDLER: 0
; COMPUTE_PGM_RSRC2:TGID_X_EN: 1
; COMPUTE_PGM_RSRC2:TGID_Y_EN: 1
; COMPUTE_PGM_RSRC2:TGID_Z_EN: 1
; COMPUTE_PGM_RSRC2:TIDIG_COMP_CNT: 0
	.text
	.p2alignl 7, 3214868480
	.fill 96, 4, 3214868480
	.section	.AMDGPU.gpr_maximums,"",@progbits
	.set amdgpu.max_num_vgpr, 0
	.set amdgpu.max_num_agpr, 0
	.set amdgpu.max_num_sgpr, 0
	.set amdgpu.max_num_named_barrier, 0
	.text
	.section	.debug_abbrev,"",@progbits
	.byte	1                               ; Abbreviation Code
	.byte	17                              ; DW_TAG_compile_unit
	.byte	1                               ; DW_CHILDREN_yes
	.byte	37                              ; DW_AT_producer
	.byte	14                              ; DW_FORM_strp
	.byte	19                              ; DW_AT_language
	.byte	5                               ; DW_FORM_data2
	.byte	3                               ; DW_AT_name
	.byte	14                              ; DW_FORM_strp
	.byte	16                              ; DW_AT_stmt_list
	.byte	23                              ; DW_FORM_sec_offset
	.byte	27                              ; DW_AT_comp_dir
	.byte	14                              ; DW_FORM_strp
	.byte	17                              ; DW_AT_low_pc
	.byte	1                               ; DW_FORM_addr
	.byte	18                              ; DW_AT_high_pc
	.byte	6                               ; DW_FORM_data4
	.byte	0                               ; EOM(1)
	.byte	0                               ; EOM(2)
	.byte	2                               ; Abbreviation Code
	.byte	46                              ; DW_TAG_subprogram
	.byte	0                               ; DW_CHILDREN_no
	.byte	3                               ; DW_AT_name
	.byte	14                              ; DW_FORM_strp
	.byte	32                              ; DW_AT_inline
	.byte	11                              ; DW_FORM_data1
	.byte	0                               ; EOM(1)
	.byte	0                               ; EOM(2)
	.byte	3                               ; Abbreviation Code
	.byte	46                              ; DW_TAG_subprogram
	.byte	1                               ; DW_CHILDREN_yes
	.byte	17                              ; DW_AT_low_pc
	.byte	1                               ; DW_FORM_addr
	.byte	18                              ; DW_AT_high_pc
	.byte	6                               ; DW_FORM_data4
	.byte	49                              ; DW_AT_abstract_origin
	.byte	19                              ; DW_FORM_ref4
	.byte	0                               ; EOM(1)
	.byte	0                               ; EOM(2)
	.byte	4                               ; Abbreviation Code
	.byte	29                              ; DW_TAG_inlined_subroutine
	.byte	1                               ; DW_CHILDREN_yes
	.byte	49                              ; DW_AT_abstract_origin
	.byte	19                              ; DW_FORM_ref4
	.byte	85                              ; DW_AT_ranges
	.byte	23                              ; DW_FORM_sec_offset
	.byte	88                              ; DW_AT_call_file
	.byte	11                              ; DW_FORM_data1
	.byte	89                              ; DW_AT_call_line
	.byte	11                              ; DW_FORM_data1
	.byte	87                              ; DW_AT_call_column
	.byte	11                              ; DW_FORM_data1
	.byte	0                               ; EOM(1)
	.byte	0                               ; EOM(2)
	.byte	5                               ; Abbreviation Code
	.byte	29                              ; DW_TAG_inlined_subroutine
	.byte	0                               ; DW_CHILDREN_no
	.byte	49                              ; DW_AT_abstract_origin
	.byte	19                              ; DW_FORM_ref4
	.byte	85                              ; DW_AT_ranges
	.byte	23                              ; DW_FORM_sec_offset
	.byte	88                              ; DW_AT_call_file
	.byte	11                              ; DW_FORM_data1
	.byte	89                              ; DW_AT_call_line
	.byte	5                               ; DW_FORM_data2
	.byte	87                              ; DW_AT_call_column
	.byte	11                              ; DW_FORM_data1
	.byte	0                               ; EOM(1)
	.byte	0                               ; EOM(2)
	;; [unrolled: 1-line block ×3, first 2 shown]
	.section	.debug_info,"",@progbits
.Lcu_begin0:
	.long	.Ldebug_info_end0-.Ldebug_info_start0 ; Length of Unit
.Ldebug_info_start0:
	.short	4                               ; DWARF version number
	.long	.debug_abbrev                   ; Offset Into Abbrev. Section
	.byte	8                               ; Address Size (in bytes)
	.byte	1                               ; Abbrev [1] 0xb:0x52 DW_TAG_compile_unit
	.long	.Linfo_string0                  ; DW_AT_producer
	.short	2                               ; DW_AT_language
	.long	.Linfo_string1                  ; DW_AT_name
	.long	.Lline_table_start0             ; DW_AT_stmt_list
	.long	.Linfo_string2                  ; DW_AT_comp_dir
	.quad	.Lfunc_begin0                   ; DW_AT_low_pc
	.long	.Lfunc_end0-.Lfunc_begin0       ; DW_AT_high_pc
	.byte	2                               ; Abbrev [2] 0x2a:0x6 DW_TAG_subprogram
	.long	.Linfo_string3                  ; DW_AT_name
	.byte	1                               ; DW_AT_inline
	.byte	3                               ; Abbrev [3] 0x30:0x2c DW_TAG_subprogram
	.quad	.Lfunc_begin0                   ; DW_AT_low_pc
	.long	.Lfunc_end0-.Lfunc_begin0       ; DW_AT_high_pc
	.long	42                              ; DW_AT_abstract_origin
	.byte	4                               ; Abbrev [4] 0x41:0x1a DW_TAG_inlined_subroutine
	.long	42                              ; DW_AT_abstract_origin
	.long	.Ldebug_ranges0                 ; DW_AT_ranges
	.byte	1                               ; DW_AT_call_file
	.byte	19                              ; DW_AT_call_line
	.byte	19                              ; DW_AT_call_column
	.byte	5                               ; Abbrev [5] 0x4d:0xd DW_TAG_inlined_subroutine
	.long	42                              ; DW_AT_abstract_origin
	.long	.Ldebug_ranges1                 ; DW_AT_ranges
	.byte	2                               ; DW_AT_call_file
	.short	293                             ; DW_AT_call_line
	.byte	36                              ; DW_AT_call_column
	.byte	0                               ; End Of Children Mark
	.byte	0                               ; End Of Children Mark
	;; [unrolled: 1-line block ×3, first 2 shown]
.Ldebug_info_end0:
	.section	.debug_ranges,"",@progbits
.Ldebug_ranges0:
	.quad	.Ltmp1-.Lfunc_begin0
	.quad	.Ltmp2-.Lfunc_begin0
	;; [unrolled: 1-line block ×164, first 2 shown]
	.quad	0
	.quad	0
.Ldebug_ranges1:
	.quad	.Ltmp4-.Lfunc_begin0
	.quad	.Ltmp5-.Lfunc_begin0
	;; [unrolled: 1-line block ×256, first 2 shown]
	.quad	0
	.quad	0
	.section	.debug_str,"MS",@progbits,1
.Linfo_string0:
	.asciz	"triton"                        ; string offset=0
.Linfo_string1:
	.asciz	"attention_bwd.py"              ; string offset=7
.Linfo_string2:
	.asciz	"/root/src/amdgpu-assembly/repos/triton-lang__triton-aot" ; string offset=24
.Linfo_string3:
	.asciz	"_attn_bwd_preprocess"          ; string offset=80
	.section	".note.GNU-stack","",@progbits
	.amdgpu_metadata
---
amdhsa.kernels:
  - .args:
      - .address_space:  global
        .offset:         0
        .size:           8
        .value_kind:     global_buffer
      - .address_space:  global
        .offset:         8
        .size:           8
        .value_kind:     global_buffer
      - .address_space:  global
        .offset:         16
        .size:           8
        .value_kind:     global_buffer
      - .offset:         24
        .size:           4
        .value_kind:     by_value
      - .offset:         28
        .size:           4
        .value_kind:     by_value
      - .offset:         32
        .size:           4
        .value_kind:     by_value
      - .address_space:  global
        .offset:         40
        .size:           8
        .value_kind:     global_buffer
      - .address_space:  global
        .offset:         48
        .size:           8
        .value_kind:     global_buffer
    .group_segment_fixed_size: 0
    .kernarg_segment_align: 8
    .kernarg_segment_size: 56
    .max_flat_workgroup_size: 128
    .name:           _attn_bwd_preprocess
    .private_segment_fixed_size: 0
    .sgpr_count:     73
    .sgpr_spill_count: 0
    .symbol:         _attn_bwd_preprocess.kd
    .uniform_work_group_size: 1
    .uses_dynamic_stack: false
    .vgpr_count:     113
    .vgpr_spill_count: 0
    .wavefront_size: 32
    .workgroup_processor_mode: 1
amdhsa.target:   amdgcn-amd-amdhsa--gfx1201
amdhsa.version:
  - 1
  - 2
...

	.end_amdgpu_metadata
	.section	.debug_line,"",@progbits
.Lline_table_start0:
